;; amdgpu-corpus repo=ROCm/rocFFT kind=compiled arch=gfx1030 opt=O3
	.text
	.amdgcn_target "amdgcn-amd-amdhsa--gfx1030"
	.amdhsa_code_object_version 6
	.protected	bluestein_single_fwd_len864_dim1_dp_op_CI_CI ; -- Begin function bluestein_single_fwd_len864_dim1_dp_op_CI_CI
	.globl	bluestein_single_fwd_len864_dim1_dp_op_CI_CI
	.p2align	8
	.type	bluestein_single_fwd_len864_dim1_dp_op_CI_CI,@function
bluestein_single_fwd_len864_dim1_dp_op_CI_CI: ; @bluestein_single_fwd_len864_dim1_dp_op_CI_CI
; %bb.0:
	s_load_dwordx4 s[8:11], s[4:5], 0x28
	v_mul_u32_u24_e32 v1, 0x4be, v0
	s_mov_b64 s[26:27], s[2:3]
	s_mov_b64 s[24:25], s[0:1]
	v_mov_b32_e32 v4, 0
	s_add_u32 s24, s24, s7
	v_lshrrev_b32_e32 v1, 16, v1
	s_addc_u32 s25, s25, 0
	s_mov_b32 s0, exec_lo
	v_add_nc_u32_e32 v3, s6, v1
	s_waitcnt lgkmcnt(0)
	v_cmpx_gt_u64_e64 s[8:9], v[3:4]
	s_cbranch_execz .LBB0_31
; %bb.1:
	s_clause 0x1
	s_load_dwordx4 s[0:3], s[4:5], 0x18
	s_load_dwordx2 s[16:17], s[4:5], 0x0
	v_mul_lo_u16 v1, v1, 54
	v_mov_b32_e32 v8, v3
	v_sub_nc_u16 v2, v0, v1
	v_mov_b32_e32 v7, v8
	v_and_b32_e32 v174, 0xffff, v2
	v_lshlrev_b32_e32 v56, 4, v174
	v_or_b32_e32 v13, 0x240, v174
	s_waitcnt lgkmcnt(0)
	s_load_dwordx4 s[12:15], s[0:1], 0x0
	s_clause 0x2
	global_load_dwordx4 v[83:86], v56, s[16:17]
	global_load_dwordx4 v[87:90], v56, s[16:17] offset:864
	global_load_dwordx4 v[111:114], v56, s[16:17] offset:1728
	v_add_co_u32 v51, s0, s16, v56
	v_add_co_ci_u32_e64 v52, null, s17, 0, s0
	v_lshlrev_b32_e32 v0, 4, v13
	v_add_co_u32 v11, vcc_lo, 0x1000, v51
	v_add_co_ci_u32_e32 v12, vcc_lo, 0, v52, vcc_lo
	buffer_store_dword v0, off, s[24:27], 0 offset:332 ; 4-byte Folded Spill
	global_load_dwordx4 v[91:94], v0, s[16:17]
	v_add_co_u32 v9, vcc_lo, 0x2000, v51
	global_load_dwordx4 v[95:98], v[11:12], off offset:512
	buffer_store_dword v11, off, s[24:27], 0 offset:20 ; 4-byte Folded Spill
	buffer_store_dword v12, off, s[24:27], 0 offset:24 ; 4-byte Folded Spill
	v_add_co_ci_u32_e32 v10, vcc_lo, 0, v52, vcc_lo
	v_add_co_u32 v53, vcc_lo, 0x1800, v51
	v_add_co_ci_u32_e32 v54, vcc_lo, 0, v52, vcc_lo
	v_add_co_u32 v0, vcc_lo, 0x2800, v51
	;; [unrolled: 2-line block ×3, first 2 shown]
	v_add_co_ci_u32_e32 v62, vcc_lo, 0, v52, vcc_lo
	s_waitcnt lgkmcnt(0)
	v_mad_u64_u32 v[3:4], null, s14, v8, 0
	v_mad_u64_u32 v[5:6], null, s12, v174, 0
	s_mul_i32 s1, s13, 0x120
	s_mul_hi_u32 s6, s12, 0x120
	s_mul_i32 s0, s12, 0x120
	s_add_i32 s1, s6, s1
	s_mul_i32 s7, s13, 0xfffff160
	s_mul_hi_u32 s9, s12, 0xfffffdf6
	s_sub_i32 s6, s7, s12
	s_mul_i32 s8, s13, 0xfffffdf6
	global_load_dwordx4 v[123:126], v[11:12], off offset:1376
	buffer_store_dword v9, off, s[24:27], 0 offset:12 ; 4-byte Folded Spill
	buffer_store_dword v10, off, s[24:27], 0 offset:16 ; 4-byte Folded Spill
	s_clause 0x1
	global_load_dwordx4 v[119:122], v[9:10], off offset:1888
	global_load_dwordx4 v[115:118], v[61:62], off offset:544
	buffer_store_dword v7, off, s[24:27], 0 offset:4 ; 4-byte Folded Spill
	buffer_store_dword v8, off, s[24:27], 0 offset:8 ; 4-byte Folded Spill
	;; [unrolled: 1-line block ×3, first 2 shown]
	v_mad_u64_u32 v[7:8], null, s15, v8, v[4:5]
	v_mad_u64_u32 v[8:9], null, s12, v13, 0
	s_lshl_b64 s[14:15], s[0:1], 4
	s_sub_i32 s1, s9, s12
	s_mul_i32 s0, s12, 0xfffffdf6
	s_add_i32 s1, s1, s8
	v_mad_u64_u32 v[10:11], null, s13, v174, v[6:7]
	v_mov_b32_e32 v4, v7
	v_mov_b32_e32 v7, v9
	s_lshl_b64 s[0:1], s[0:1], 4
	v_lshlrev_b64 v[3:4], 4, v[3:4]
	v_mov_b32_e32 v6, v10
	v_mad_u64_u32 v[9:10], null, s13, v13, v[7:8]
	v_lshlrev_b64 v[5:6], 4, v[5:6]
	v_add_co_u32 v7, vcc_lo, s10, v3
	v_add_co_ci_u32_e32 v14, vcc_lo, s11, v4, vcc_lo
	v_lshlrev_b64 v[3:4], 4, v[8:9]
	v_add_co_u32 v10, vcc_lo, v7, v5
	v_add_co_ci_u32_e32 v11, vcc_lo, v14, v6, vcc_lo
	v_add_co_u32 v12, vcc_lo, v10, s14
	v_add_co_ci_u32_e32 v13, vcc_lo, s15, v11, vcc_lo
	;; [unrolled: 2-line block ×3, first 2 shown]
	v_mad_u64_u32 v[15:16], null, 0xfffff160, s12, v[12:13]
	s_clause 0x2
	global_load_dwordx4 v[3:6], v[3:4], off
	global_load_dwordx4 v[7:10], v[10:11], off
	;; [unrolled: 1-line block ×3, first 2 shown]
	v_add_nc_u32_e32 v16, s6, v16
	v_add_co_u32 v19, vcc_lo, v15, s14
	v_add_co_ci_u32_e32 v20, vcc_lo, s15, v16, vcc_lo
	v_add_co_u32 v23, vcc_lo, v19, s14
	global_load_dwordx4 v[15:18], v[15:16], off
	v_add_co_ci_u32_e32 v24, vcc_lo, s15, v20, vcc_lo
	v_add_co_u32 v27, vcc_lo, v23, s0
	v_add_co_ci_u32_e32 v28, vcc_lo, s1, v24, vcc_lo
	v_add_co_u32 v31, vcc_lo, v27, s14
	s_clause 0x1
	global_load_dwordx4 v[19:22], v[19:20], off
	global_load_dwordx4 v[23:26], v[23:24], off
	v_add_co_ci_u32_e32 v32, vcc_lo, s15, v28, vcc_lo
	v_add_co_u32 v35, vcc_lo, v31, s14
	global_load_dwordx4 v[27:30], v[27:28], off
	v_add_co_ci_u32_e32 v36, vcc_lo, s15, v32, vcc_lo
	v_add_co_u32 v39, vcc_lo, v35, s0
	;; [unrolled: 3-line block ×5, first 2 shown]
	global_load_dwordx4 v[43:46], v[43:44], off
	v_add_co_ci_u32_e32 v64, vcc_lo, s1, v48, vcc_lo
	s_clause 0x1
	global_load_dwordx4 v[139:142], v[53:54], off offset:192
	global_load_dwordx4 v[131:134], v[53:54], off offset:1056
	global_load_dwordx4 v[47:50], v[47:48], off
	s_clause 0x1
	global_load_dwordx4 v[135:138], v[0:1], off offset:704
	global_load_dwordx4 v[127:130], v[0:1], off offset:1568
	global_load_dwordx4 v[57:60], v[63:64], off
	v_add_co_u32 v63, vcc_lo, v63, s14
	v_add_co_ci_u32_e32 v64, vcc_lo, s15, v64, vcc_lo
	v_add_co_u32 v51, vcc_lo, 0x3000, v51
	v_add_co_ci_u32_e32 v52, vcc_lo, 0, v52, vcc_lo
	v_add_co_u32 v0, vcc_lo, v63, s14
	v_add_co_ci_u32_e32 v1, vcc_lo, s15, v64, vcc_lo
	global_load_dwordx4 v[143:146], v[61:62], off offset:1408
	global_load_dwordx4 v[61:64], v[63:64], off
	global_load_dwordx4 v[147:150], v[53:54], off offset:1920
	buffer_store_dword v51, off, s[24:27], 0 offset:112 ; 4-byte Folded Spill
	buffer_store_dword v52, off, s[24:27], 0 offset:116 ; 4-byte Folded Spill
	v_cmp_gt_u16_e32 vcc_lo, 18, v2
	global_load_dwordx4 v[151:154], v[51:52], off offset:384
	global_load_dwordx4 v[65:68], v[0:1], off
	s_waitcnt vmcnt(20)
	v_mul_f64 v[53:54], v[9:10], v[85:86]
	v_mul_f64 v[71:72], v[5:6], v[93:94]
	s_waitcnt vmcnt(19)
	v_mul_f64 v[75:76], v[13:14], v[97:98]
	s_waitcnt vmcnt(18)
	v_mul_f64 v[79:80], v[17:18], v[89:90]
	v_mul_f64 v[69:70], v[7:8], v[85:86]
	;; [unrolled: 1-line block ×5, first 2 shown]
	s_waitcnt vmcnt(4)
	v_mul_f64 v[99:100], v[59:60], v[145:146]
	s_waitcnt vmcnt(2)
	v_mul_f64 v[103:104], v[63:64], v[149:150]
	v_mul_f64 v[101:102], v[57:58], v[145:146]
	v_mul_f64 v[105:106], v[61:62], v[149:150]
	v_fma_f64 v[7:8], v[7:8], v[83:84], v[53:54]
	buffer_store_dword v83, off, s[24:27], 0 offset:32 ; 4-byte Folded Spill
	buffer_store_dword v84, off, s[24:27], 0 offset:36 ; 4-byte Folded Spill
	buffer_store_dword v85, off, s[24:27], 0 offset:40 ; 4-byte Folded Spill
	buffer_store_dword v86, off, s[24:27], 0 offset:44 ; 4-byte Folded Spill
	v_fma_f64 v[3:4], v[3:4], v[91:92], v[71:72]
	buffer_store_dword v91, off, s[24:27], 0 offset:96 ; 4-byte Folded Spill
	buffer_store_dword v92, off, s[24:27], 0 offset:100 ; 4-byte Folded Spill
	buffer_store_dword v93, off, s[24:27], 0 offset:104 ; 4-byte Folded Spill
	buffer_store_dword v94, off, s[24:27], 0 offset:108 ; 4-byte Folded Spill
	;; [unrolled: 5-line block ×4, first 2 shown]
	v_mul_f64 v[53:54], v[21:22], v[125:126]
	v_mul_f64 v[71:72], v[25:26], v[121:122]
	;; [unrolled: 1-line block ×8, first 2 shown]
	v_fma_f64 v[57:58], v[57:58], v[143:144], v[99:100]
	v_fma_f64 v[61:62], v[61:62], v[147:148], v[103:104]
	s_waitcnt vmcnt(0)
	v_mul_f64 v[107:108], v[67:68], v[153:154]
	v_mul_f64 v[109:110], v[65:66], v[153:154]
	v_fma_f64 v[9:10], v[9:10], v[83:84], -v[69:70]
	v_mul_f64 v[83:84], v[33:34], v[141:142]
	v_fma_f64 v[5:6], v[5:6], v[91:92], -v[73:74]
	;; [unrolled: 2-line block ×4, first 2 shown]
	v_mul_f64 v[87:88], v[41:42], v[117:118]
	v_mul_f64 v[69:70], v[19:20], v[125:126]
	;; [unrolled: 1-line block ×5, first 2 shown]
	v_fma_f64 v[19:20], v[19:20], v[123:124], v[53:54]
	buffer_store_dword v123, off, s[24:27], 0 offset:136 ; 4-byte Folded Spill
	buffer_store_dword v124, off, s[24:27], 0 offset:140 ; 4-byte Folded Spill
	buffer_store_dword v125, off, s[24:27], 0 offset:144 ; 4-byte Folded Spill
	buffer_store_dword v126, off, s[24:27], 0 offset:148 ; 4-byte Folded Spill
	v_fma_f64 v[23:24], v[23:24], v[119:120], v[71:72]
	buffer_store_dword v119, off, s[24:27], 0 offset:120 ; 4-byte Folded Spill
	buffer_store_dword v120, off, s[24:27], 0 offset:124 ; 4-byte Folded Spill
	buffer_store_dword v121, off, s[24:27], 0 offset:128 ; 4-byte Folded Spill
	buffer_store_dword v122, off, s[24:27], 0 offset:132 ; 4-byte Folded Spill
	;; [unrolled: 5-line block ×3, first 2 shown]
	v_fma_f64 v[35:36], v[35:36], v[135:136], v[79:80]
	v_fma_f64 v[65:66], v[65:66], v[151:152], v[107:108]
	;; [unrolled: 1-line block ×3, first 2 shown]
	buffer_store_dword v139, off, s[24:27], 0 offset:216 ; 4-byte Folded Spill
	buffer_store_dword v140, off, s[24:27], 0 offset:220 ; 4-byte Folded Spill
	;; [unrolled: 1-line block ×8, first 2 shown]
	v_fma_f64 v[43:44], v[43:44], v[131:132], v[91:92]
	v_fma_f64 v[47:48], v[47:48], v[127:128], v[95:96]
	;; [unrolled: 1-line block ×3, first 2 shown]
	buffer_store_dword v115, off, s[24:27], 0 offset:80 ; 4-byte Folded Spill
	buffer_store_dword v116, off, s[24:27], 0 offset:84 ; 4-byte Folded Spill
	;; [unrolled: 1-line block ×24, first 2 shown]
	s_load_dwordx2 s[6:7], s[4:5], 0x38
	s_load_dwordx4 s[8:11], s[2:3], 0x0
	v_fma_f64 v[21:22], v[21:22], v[123:124], -v[69:70]
	v_fma_f64 v[25:26], v[25:26], v[119:120], -v[73:74]
	;; [unrolled: 1-line block ×11, first 2 shown]
	ds_write_b128 v56, v[7:10]
	ds_write_b128 v56, v[11:14] offset:4608
	ds_write_b128 v56, v[3:6] offset:9216
	;; [unrolled: 1-line block ×14, first 2 shown]
	s_and_saveexec_b32 s2, vcc_lo
	s_cbranch_execz .LBB0_3
; %bb.2:
	v_add_co_u32 v0, s0, v0, s0
	v_add_co_ci_u32_e64 v1, s0, s1, v1, s0
	v_add_co_u32 v8, s0, v0, s14
	v_add_co_ci_u32_e64 v9, s0, s15, v1, s0
	global_load_dwordx4 v[0:3], v[0:1], off
	s_clause 0x1
	buffer_load_dword v4, off, s[24:27], 0 offset:20
	buffer_load_dword v5, off, s[24:27], 0 offset:24
	v_add_co_u32 v20, s0, v8, s14
	v_add_co_ci_u32_e64 v21, s0, s15, v9, s0
	s_waitcnt vmcnt(0)
	global_load_dwordx4 v[4:7], v[4:5], off offset:224
	global_load_dwordx4 v[8:11], v[8:9], off
	s_clause 0x1
	buffer_load_dword v12, off, s[24:27], 0 offset:12
	buffer_load_dword v13, off, s[24:27], 0 offset:16
	s_waitcnt vmcnt(3)
	v_mul_f64 v[24:25], v[2:3], v[6:7]
	v_mul_f64 v[6:7], v[0:1], v[6:7]
	s_waitcnt vmcnt(0)
	global_load_dwordx4 v[12:15], v[12:13], off offset:736
	s_clause 0x1
	buffer_load_dword v16, off, s[24:27], 0 offset:112
	buffer_load_dword v17, off, s[24:27], 0 offset:116
	s_waitcnt vmcnt(0)
	global_load_dwordx4 v[16:19], v[16:17], off offset:1248
	global_load_dwordx4 v[20:23], v[20:21], off
	v_mul_f64 v[26:27], v[10:11], v[14:15]
	v_mul_f64 v[14:15], v[8:9], v[14:15]
	v_fma_f64 v[0:1], v[0:1], v[4:5], v[24:25]
	v_fma_f64 v[2:3], v[2:3], v[4:5], -v[6:7]
	v_fma_f64 v[4:5], v[8:9], v[12:13], v[26:27]
	v_fma_f64 v[6:7], v[10:11], v[12:13], -v[14:15]
	s_waitcnt vmcnt(0)
	v_mul_f64 v[28:29], v[22:23], v[18:19]
	v_mul_f64 v[18:19], v[20:21], v[18:19]
	v_fma_f64 v[8:9], v[20:21], v[16:17], v[28:29]
	v_fma_f64 v[10:11], v[22:23], v[16:17], -v[18:19]
	ds_write_b128 v56, v[0:3] offset:4320
	ds_write_b128 v56, v[4:7] offset:8928
	;; [unrolled: 1-line block ×3, first 2 shown]
.LBB0_3:
	s_or_b32 exec_lo, exec_lo, s2
	s_waitcnt lgkmcnt(0)
	s_waitcnt_vscnt null, 0x0
	s_barrier
	buffer_gl0_inv
	ds_read_b128 v[40:43], v56
	ds_read_b128 v[36:39], v56 offset:864
	ds_read_b128 v[76:79], v56 offset:9216
	;; [unrolled: 1-line block ×14, first 2 shown]
                                        ; implicit-def: $vgpr16_vgpr17
                                        ; implicit-def: $vgpr68_vgpr69
                                        ; implicit-def: $vgpr12_vgpr13
	s_and_saveexec_b32 s0, vcc_lo
	s_cbranch_execz .LBB0_5
; %bb.4:
	ds_read_b128 v[16:19], v56 offset:4320
	ds_read_b128 v[68:71], v56 offset:8928
	;; [unrolled: 1-line block ×3, first 2 shown]
.LBB0_5:
	s_or_b32 exec_lo, exec_lo, s0
	s_waitcnt lgkmcnt(4)
	v_add_f64 v[54:55], v[48:49], v[76:77]
	v_add_f64 v[57:58], v[50:51], v[78:79]
	;; [unrolled: 1-line block ×5, first 2 shown]
	v_add_f64 v[86:87], v[50:51], -v[78:79]
	v_add_f64 v[50:51], v[42:43], v[50:51]
	v_add_f64 v[88:89], v[48:49], -v[76:77]
	v_add_f64 v[96:97], v[44:45], -v[72:73]
	v_add_f64 v[98:99], v[32:33], v[8:9]
	v_add_co_u32 v190, s0, v174, 54
	v_add_co_ci_u32_e64 v52, null, 0, 0, s0
	v_add_co_u32 v48, s0, 0x10e, v174
	v_add_f64 v[90:91], v[36:37], v[44:45]
	v_add_f64 v[92:93], v[46:47], -v[74:75]
	v_add_f64 v[102:103], v[34:35], v[10:11]
	s_waitcnt lgkmcnt(2)
	v_add_f64 v[104:105], v[64:65], v[4:5]
	v_add_f64 v[106:107], v[66:67], v[6:7]
	;; [unrolled: 1-line block ×3, first 2 shown]
	v_fma_f64 v[54:55], v[54:55], -0.5, v[40:41]
	v_fma_f64 v[57:58], v[57:58], -0.5, v[42:43]
	;; [unrolled: 1-line block ×4, first 2 shown]
	v_add_co_ci_u32_e64 v36, null, 0, 0, s0
	s_mov_b32 s0, 0xe8584caa
	s_mov_b32 s1, 0x3febb67a
	;; [unrolled: 1-line block ×3, first 2 shown]
	buffer_store_dword v36, off, s[24:27], 0 offset:336 ; 4-byte Folded Spill
	s_mov_b32 s2, s0
	v_add_f64 v[36:37], v[84:85], v[76:77]
	s_waitcnt lgkmcnt(0)
	v_add_f64 v[84:85], v[68:69], v[12:13]
	v_add_f64 v[100:101], v[60:61], v[32:33]
	v_add_f64 v[38:39], v[50:51], v[78:79]
	v_add_f64 v[50:51], v[28:29], v[0:1]
	v_add_f64 v[72:73], v[90:91], v[72:73]
	v_add_f64 v[32:33], v[32:33], -v[8:9]
	v_add_f64 v[90:91], v[24:25], v[64:65]
	v_fma_f64 v[24:25], v[104:105], -0.5, v[24:25]
	v_add_f64 v[114:115], v[70:71], -v[14:15]
	v_add_f64 v[74:75], v[94:95], v[74:75]
	v_fma_f64 v[40:41], v[86:87], s[0:1], v[54:55]
	v_fma_f64 v[44:45], v[86:87], s[2:3], v[54:55]
	;; [unrolled: 1-line block ×4, first 2 shown]
	v_add_f64 v[54:55], v[30:31], v[2:3]
	v_fma_f64 v[78:79], v[96:97], s[2:3], v[82:83]
	v_fma_f64 v[86:87], v[98:99], -0.5, v[60:61]
	v_add_f64 v[88:89], v[34:35], -v[10:11]
	v_fma_f64 v[59:60], v[96:97], s[0:1], v[82:83]
	v_add_f64 v[82:83], v[70:71], v[14:15]
	v_fma_f64 v[76:77], v[92:93], s[0:1], v[80:81]
	v_fma_f64 v[57:58], v[92:93], s[2:3], v[80:81]
	v_add_f64 v[34:35], v[62:63], v[34:35]
	v_fma_f64 v[61:62], v[102:103], -0.5, v[62:63]
	v_add_f64 v[92:93], v[66:67], -v[6:7]
	v_add_f64 v[66:67], v[26:27], v[66:67]
	v_fma_f64 v[26:27], v[106:107], -0.5, v[26:27]
	v_add_f64 v[63:64], v[64:65], -v[4:5]
	v_add_f64 v[98:99], v[16:17], v[68:69]
	v_add_f64 v[94:95], v[20:21], v[28:29]
	v_fma_f64 v[84:85], v[84:85], -0.5, v[16:17]
	v_add_f64 v[70:71], v[18:19], v[70:71]
	v_add_f64 v[80:81], v[100:101], v[8:9]
	v_fma_f64 v[50:51], v[50:51], -0.5, v[20:21]
	v_add_f64 v[96:97], v[30:31], -v[2:3]
	v_add_f64 v[30:31], v[22:23], v[30:31]
	v_fma_f64 v[54:55], v[54:55], -0.5, v[22:23]
	v_add_f64 v[28:29], v[28:29], -v[0:1]
	v_add_f64 v[68:69], v[68:69], -v[12:13]
	v_fma_f64 v[8:9], v[88:89], s[0:1], v[86:87]
	v_fma_f64 v[16:17], v[88:89], s[2:3], v[86:87]
	v_fma_f64 v[86:87], v[82:83], -0.5, v[18:19]
	v_add_f64 v[4:5], v[90:91], v[4:5]
	v_add_co_u32 v189, null, 0x6c, v174
	v_add_f64 v[82:83], v[34:35], v[10:11]
	v_fma_f64 v[18:19], v[32:33], s[0:1], v[61:62]
	v_add_f64 v[6:7], v[66:67], v[6:7]
	v_fma_f64 v[10:11], v[32:33], s[2:3], v[61:62]
	v_fma_f64 v[20:21], v[92:93], s[0:1], v[24:25]
	;; [unrolled: 1-line block ×3, first 2 shown]
	v_add_f64 v[112:113], v[98:99], v[12:13]
	v_mul_lo_u16 v12, v174, 3
	v_mov_b32_e32 v13, 4
	v_add_f64 v[100:101], v[94:95], v[0:1]
	v_fma_f64 v[132:133], v[114:115], s[0:1], v[84:85]
	v_fma_f64 v[0:1], v[114:115], s[2:3], v[84:85]
	v_add_f64 v[114:115], v[70:71], v[14:15]
	v_mul_u32_u24_e32 v14, 3, v190
	v_fma_f64 v[24:25], v[92:93], s[2:3], v[24:25]
	v_fma_f64 v[26:27], v[63:64], s[0:1], v[26:27]
	v_fma_f64 v[104:105], v[96:97], s[0:1], v[50:51]
	v_fma_f64 v[108:109], v[96:97], s[2:3], v[50:51]
	v_add_f64 v[102:103], v[30:31], v[2:3]
	v_fma_f64 v[106:107], v[28:29], s[2:3], v[54:55]
	v_fma_f64 v[110:111], v[28:29], s[0:1], v[54:55]
	;; [unrolled: 1-line block ×4, first 2 shown]
	v_add_co_u32 v188, null, 0xa2, v174
	v_lshlrev_b32_sdwa v13, v13, v12 dst_sel:DWORD dst_unused:UNUSED_PAD src0_sel:DWORD src1_sel:WORD_0
	v_lshlrev_b32_e32 v14, 4, v14
	v_add_co_u32 v53, null, 0xd8, v174
	s_waitcnt_vscnt null, 0x0
	s_barrier
	buffer_gl0_inv
	ds_write_b128 v13, v[36:39]
	v_mul_u32_u24_e32 v12, 3, v189
	ds_write_b128 v13, v[40:43] offset:16
	buffer_store_dword v13, off, s[24:27], 0 offset:292 ; 4-byte Folded Spill
	ds_write_b128 v13, v[44:47] offset:32
	ds_write_b128 v14, v[72:75]
	v_mul_u32_u24_e32 v13, 3, v188
	v_mov_b32_e32 v62, v48
	v_lshlrev_b32_e32 v15, 4, v12
	v_mul_u32_u24_e32 v12, 3, v53
	ds_write_b128 v14, v[76:79] offset:16
	v_lshlrev_b32_e32 v13, 4, v13
	buffer_store_dword v14, off, s[24:27], 0 offset:288 ; 4-byte Folded Spill
	ds_write_b128 v14, v[57:60] offset:32
	ds_write_b128 v15, v[80:83]
	ds_write_b128 v15, v[8:11] offset:16
	buffer_store_dword v15, off, s[24:27], 0 offset:300 ; 4-byte Folded Spill
	ds_write_b128 v15, v[16:19] offset:32
	v_lshlrev_b32_e32 v8, 4, v12
	ds_write_b128 v13, v[4:7]
	ds_write_b128 v13, v[20:23] offset:16
	v_mul_u32_u24_e32 v4, 3, v62
	buffer_store_dword v4, off, s[24:27], 0 offset:352 ; 4-byte Folded Spill
	buffer_store_dword v13, off, s[24:27], 0 offset:304 ; 4-byte Folded Spill
	ds_write_b128 v13, v[24:27] offset:32
	ds_write_b128 v8, v[100:103]
	ds_write_b128 v8, v[104:107] offset:16
	buffer_store_dword v8, off, s[24:27], 0 offset:296 ; 4-byte Folded Spill
	ds_write_b128 v8, v[108:111] offset:32
	s_and_saveexec_b32 s0, vcc_lo
	s_cbranch_execz .LBB0_7
; %bb.6:
	v_mul_u32_u24_e32 v4, 3, v62
	v_lshlrev_b32_e32 v4, 4, v4
	ds_write_b128 v4, v[112:115]
	ds_write_b128 v4, v[132:135] offset:16
	ds_write_b128 v4, v[0:3] offset:32
.LBB0_7:
	s_or_b32 exec_lo, exec_lo, s0
	s_waitcnt lgkmcnt(0)
	s_waitcnt_vscnt null, 0x0
	s_barrier
	buffer_gl0_inv
	ds_read_b128 v[136:139], v56
	ds_read_b128 v[4:7], v56 offset:864
	ds_read_b128 v[44:47], v56 offset:2304
	;; [unrolled: 1-line block ×11, first 2 shown]
	s_load_dwordx2 s[2:3], s[4:5], 0x8
	v_cmp_gt_u16_e64 s0, 36, v174
	s_and_saveexec_b32 s1, s0
	s_cbranch_execz .LBB0_9
; %bb.8:
	ds_read_b128 v[100:103], v56 offset:1728
	ds_read_b128 v[104:107], v56 offset:4032
	;; [unrolled: 1-line block ×6, first 2 shown]
.LBB0_9:
	s_or_b32 exec_lo, exec_lo, s1
	v_and_b32_e32 v50, 0xff, v174
	s_mov_b32 s12, 0xe8584caa
	s_mov_b32 s13, 0x3febb67a
	s_mov_b32 s5, 0xbfebb67a
	s_mov_b32 s4, s12
	v_mul_lo_u16 v48, 0xab, v50
	v_lshrrev_b16 v51, 9, v48
	v_mul_lo_u16 v48, v51, 3
	v_sub_nc_u16 v48, v174, v48
	v_and_b32_e32 v57, 0xff, v48
	s_waitcnt lgkmcnt(0)
	v_mad_u64_u32 v[58:59], null, 0x50, v57, s[2:3]
	s_clause 0x1
	global_load_dwordx4 v[92:95], v[58:59], off
	global_load_dwordx4 v[96:99], v[58:59], off offset:16
	s_waitcnt vmcnt(1)
	v_mul_f64 v[60:61], v[46:47], v[94:95]
	v_fma_f64 v[140:141], v[44:45], v[92:93], -v[60:61]
	v_mul_f64 v[44:45], v[44:45], v[94:95]
	v_fma_f64 v[142:143], v[46:47], v[92:93], v[44:45]
	s_waitcnt vmcnt(0)
	v_mul_f64 v[44:45], v[42:43], v[98:99]
	v_fma_f64 v[144:145], v[40:41], v[96:97], -v[44:45]
	v_mul_f64 v[40:41], v[40:41], v[98:99]
	v_fma_f64 v[146:147], v[42:43], v[96:97], v[40:41]
	s_clause 0x1
	global_load_dwordx4 v[42:45], v[58:59], off offset:32
	global_load_dwordx4 v[64:67], v[58:59], off offset:48
	s_waitcnt vmcnt(1)
	v_mul_f64 v[40:41], v[38:39], v[44:45]
	v_fma_f64 v[148:149], v[36:37], v[42:43], -v[40:41]
	v_mul_f64 v[36:37], v[36:37], v[44:45]
	buffer_store_dword v42, off, s[24:27], 0 offset:308 ; 4-byte Folded Spill
	buffer_store_dword v43, off, s[24:27], 0 offset:312 ; 4-byte Folded Spill
	;; [unrolled: 1-line block ×4, first 2 shown]
	global_load_dwordx4 v[88:91], v[58:59], off offset:64
	v_fma_f64 v[150:151], v[38:39], v[42:43], v[36:37]
	s_waitcnt vmcnt(1)
	v_mul_f64 v[36:37], v[34:35], v[66:67]
	v_add_f64 v[42:43], v[140:141], v[148:149]
	v_fma_f64 v[152:153], v[32:33], v[64:65], -v[36:37]
	v_mul_f64 v[32:33], v[32:33], v[66:67]
	v_fma_f64 v[154:155], v[34:35], v[64:65], v[32:33]
	v_and_b32_e32 v32, 0xff, v190
	v_mul_lo_u16 v32, 0xab, v32
	v_lshrrev_b16 v40, 9, v32
	v_mul_lo_u16 v32, v40, 3
	v_sub_nc_u16 v32, v190, v32
	v_and_b32_e32 v41, 0xff, v32
	v_mad_u64_u32 v[32:33], null, 0x50, v41, s[2:3]
	s_clause 0x4
	global_load_dwordx4 v[68:71], v[32:33], off
	global_load_dwordx4 v[76:79], v[32:33], off offset:16
	global_load_dwordx4 v[72:75], v[32:33], off offset:32
	;; [unrolled: 1-line block ×4, first 2 shown]
	s_waitcnt vmcnt(5)
	v_mul_f64 v[34:35], v[30:31], v[90:91]
	v_fma_f64 v[58:59], v[28:29], v[88:89], -v[34:35]
	v_mul_f64 v[28:29], v[28:29], v[90:91]
	v_fma_f64 v[156:157], v[30:31], v[88:89], v[28:29]
	s_waitcnt vmcnt(4)
	v_mul_f64 v[28:29], v[26:27], v[70:71]
	v_fma_f64 v[158:159], v[24:25], v[68:69], -v[28:29]
	v_mul_f64 v[24:25], v[24:25], v[70:71]
	v_fma_f64 v[160:161], v[26:27], v[68:69], v[24:25]
	;; [unrolled: 5-line block ×6, first 2 shown]
	v_and_b32_e32 v10, 0xff, v189
	v_mul_lo_u16 v10, 0xab, v10
	v_lshrrev_b16 v10, 9, v10
	buffer_store_dword v10, off, s[24:27], 0 offset:280 ; 4-byte Folded Spill
	v_mul_lo_u16 v10, v10, 3
	v_sub_nc_u16 v10, v189, v10
	v_and_b32_e32 v10, 0xff, v10
	buffer_store_dword v10, off, s[24:27], 0 offset:284 ; 4-byte Folded Spill
	v_mad_u64_u32 v[10:11], null, 0x50, v10, s[2:3]
	s_clause 0x3
	global_load_dwordx4 v[120:123], v[10:11], off
	global_load_dwordx4 v[116:119], v[10:11], off offset:16
	global_load_dwordx4 v[128:131], v[10:11], off offset:32
	;; [unrolled: 1-line block ×3, first 2 shown]
	s_waitcnt vmcnt(3)
	v_mul_f64 v[20:21], v[106:107], v[122:123]
	s_waitcnt vmcnt(1)
	v_mul_f64 v[30:31], v[112:113], v[130:131]
	;; [unrolled: 2-line block ×3, first 2 shown]
	v_mul_f64 v[22:23], v[104:105], v[122:123]
	v_mul_f64 v[26:27], v[108:109], v[118:119]
	v_fma_f64 v[20:21], v[104:105], v[120:121], -v[20:21]
	v_fma_f64 v[34:35], v[114:115], v[128:129], v[30:31]
	v_mul_f64 v[30:31], v[134:135], v[126:127]
	v_fma_f64 v[32:33], v[134:135], v[124:125], v[32:33]
	v_add_f64 v[104:105], v[42:43], v[58:59]
	v_add_f64 v[42:43], v[142:143], v[150:151]
	v_fma_f64 v[24:25], v[106:107], v[120:121], v[22:23]
	v_mul_f64 v[22:23], v[110:111], v[118:119]
	v_fma_f64 v[28:29], v[110:111], v[116:117], v[26:27]
	v_mul_f64 v[26:27], v[114:115], v[130:131]
	v_fma_f64 v[30:31], v[132:133], v[124:125], -v[30:31]
	global_load_dwordx4 v[132:135], v[10:11], off offset:64
	s_waitcnt vmcnt(0)
	s_waitcnt_vscnt null, 0x0
	v_add_f64 v[106:107], v[42:43], v[156:157]
	v_mov_b32_e32 v42, 18
	v_fma_f64 v[22:23], v[108:109], v[116:117], -v[22:23]
	s_barrier
	v_fma_f64 v[26:27], v[112:113], v[128:129], -v[26:27]
	buffer_gl0_inv
	v_mul_u32_u24_sdwa v47, v51, v42 dst_sel:DWORD dst_unused:UNUSED_PAD src0_sel:WORD_0 src1_sel:DWORD
	v_mul_u32_u24_sdwa v40, v40, v42 dst_sel:DWORD dst_unused:UNUSED_PAD src0_sel:WORD_0 src1_sel:DWORD
	v_add_lshl_u32 v47, v47, v57, 4
	v_add_lshl_u32 v40, v40, v41, 4
	v_mul_f64 v[10:11], v[2:3], v[134:135]
	v_fma_f64 v[36:37], v[0:1], v[132:133], -v[10:11]
	v_mul_f64 v[0:1], v[0:1], v[134:135]
	v_fma_f64 v[38:39], v[2:3], v[132:133], v[0:1]
	v_add_f64 v[0:1], v[144:145], v[152:153]
	v_add_f64 v[2:3], v[138:139], v[146:147]
	v_fma_f64 v[10:11], v[0:1], -0.5, v[136:137]
	v_add_f64 v[0:1], v[146:147], v[154:155]
	v_add_f64 v[2:3], v[2:3], v[154:155]
	v_fma_f64 v[168:169], v[0:1], -0.5, v[138:139]
	v_add_f64 v[0:1], v[136:137], v[144:145]
	v_add_f64 v[45:46], v[2:3], v[106:107]
	v_add_f64 v[106:107], v[2:3], -v[106:107]
	v_add_f64 v[2:3], v[6:7], v[164:165]
	v_add_f64 v[138:139], v[146:147], -v[154:155]
	v_add_f64 v[0:1], v[0:1], v[152:153]
	v_add_f64 v[2:3], v[2:3], v[12:13]
	v_fma_f64 v[146:147], v[138:139], s[12:13], v[10:11]
	v_fma_f64 v[10:11], v[138:139], s[4:5], v[10:11]
	v_add_f64 v[43:44], v[0:1], v[104:105]
	v_add_f64 v[104:105], v[0:1], -v[104:105]
	v_add_f64 v[0:1], v[162:163], v[18:19]
	v_fma_f64 v[170:171], v[0:1], -0.5, v[4:5]
	v_add_f64 v[0:1], v[164:165], v[12:13]
	v_add_f64 v[12:13], v[164:165], -v[12:13]
	v_fma_f64 v[172:173], v[0:1], -0.5, v[6:7]
	v_add_f64 v[0:1], v[4:5], v[162:163]
	v_add_f64 v[4:5], v[158:159], v[166:167]
	;; [unrolled: 1-line block ×7, first 2 shown]
	v_add_f64 v[0:1], v[0:1], -v[108:109]
	v_add_f64 v[108:109], v[148:149], v[58:59]
	v_add_f64 v[58:59], v[148:149], -v[58:59]
	v_add_f64 v[6:7], v[2:3], v[110:111]
	;; [unrolled: 2-line block ×3, first 2 shown]
	v_fma_f64 v[140:141], v[108:109], -0.5, v[140:141]
	v_fma_f64 v[136:137], v[110:111], -0.5, v[142:143]
	v_add_f64 v[142:143], v[144:145], -v[152:153]
	v_add_f64 v[144:145], v[150:151], -v[156:157]
	v_fma_f64 v[108:109], v[58:59], s[4:5], v[136:137]
	v_fma_f64 v[58:59], v[58:59], s[12:13], v[136:137]
	;; [unrolled: 1-line block ×6, first 2 shown]
	v_mul_f64 v[112:113], v[108:109], s[12:13]
	v_mul_f64 v[136:137], v[140:141], -0.5
	v_fma_f64 v[112:113], v[110:111], 0.5, v[112:113]
	v_mul_f64 v[110:111], v[110:111], s[4:5]
	v_fma_f64 v[144:145], v[58:59], s[12:13], v[136:137]
	v_mul_f64 v[58:59], v[58:59], -0.5
	v_fma_f64 v[114:115], v[108:109], 0.5, v[110:111]
	v_add_f64 v[108:109], v[146:147], v[112:113]
	v_add_f64 v[136:137], v[10:11], v[144:145]
	v_fma_f64 v[58:59], v[140:141], s[4:5], v[58:59]
	v_add_f64 v[140:141], v[10:11], -v[144:145]
	v_add_f64 v[10:11], v[166:167], v[14:15]
	v_add_f64 v[14:15], v[166:167], -v[14:15]
	v_add_f64 v[112:113], v[146:147], -v[112:113]
	;; [unrolled: 1-line block ×4, first 2 shown]
	v_add_f64 v[110:111], v[148:149], v[114:115]
	v_add_f64 v[114:115], v[148:149], -v[114:115]
	v_add_f64 v[138:139], v[142:143], v[58:59]
	v_add_f64 v[142:143], v[142:143], -v[58:59]
	v_add_f64 v[58:59], v[16:17], v[8:9]
	v_fma_f64 v[148:149], v[10:11], -0.5, v[158:159]
	ds_write_b128 v47, v[43:46]
	ds_write_b128 v47, v[104:107] offset:144
	ds_write_b128 v47, v[108:111] offset:48
	;; [unrolled: 1-line block ×4, first 2 shown]
	v_fma_f64 v[152:153], v[144:145], s[4:5], v[172:173]
	buffer_store_dword v47, off, s[24:27], 0 offset:324 ; 4-byte Folded Spill
	ds_write_b128 v47, v[140:143] offset:240
	v_fma_f64 v[58:59], v[58:59], -0.5, v[160:161]
	v_fma_f64 v[10:11], v[146:147], s[12:13], v[148:149]
	v_fma_f64 v[146:147], v[146:147], s[4:5], v[148:149]
	;; [unrolled: 1-line block ×5, first 2 shown]
	v_mul_f64 v[58:59], v[146:147], -0.5
	v_mul_f64 v[16:17], v[8:9], s[12:13]
	v_fma_f64 v[58:59], v[14:15], s[12:13], v[58:59]
	v_mul_f64 v[14:15], v[14:15], -0.5
	v_fma_f64 v[150:151], v[10:11], 0.5, v[16:17]
	v_mul_f64 v[10:11], v[10:11], s[4:5]
	v_fma_f64 v[14:15], v[146:147], s[4:5], v[14:15]
	v_fma_f64 v[10:11], v[8:9], 0.5, v[10:11]
	v_fma_f64 v[8:9], v[12:13], s[12:13], v[170:171]
	v_fma_f64 v[12:13], v[12:13], s[4:5], v[170:171]
	v_add_f64 v[146:147], v[148:149], v[14:15]
	v_add_f64 v[14:15], v[148:149], -v[14:15]
	v_add_f64 v[18:19], v[152:153], v[10:11]
	v_add_f64 v[16:17], v[8:9], v[150:151]
	;; [unrolled: 1-line block ×3, first 2 shown]
	v_add_f64 v[8:9], v[8:9], -v[150:151]
	v_add_f64 v[10:11], v[152:153], -v[10:11]
	ds_write_b128 v40, v[4:7]
	ds_write_b128 v40, v[16:19] offset:48
	ds_write_b128 v40, v[144:147] offset:96
	ds_write_b128 v40, v[0:3] offset:144
	ds_write_b128 v40, v[8:11] offset:192
	v_add_f64 v[0:1], v[22:23], v[30:31]
	v_add_f64 v[4:5], v[28:29], -v[32:33]
	v_add_f64 v[8:9], v[22:23], -v[30:31]
	;; [unrolled: 1-line block ×4, first 2 shown]
	buffer_store_dword v40, off, s[24:27], 0 offset:328 ; 4-byte Folded Spill
	v_fma_f64 v[2:3], v[0:1], -0.5, v[100:101]
	ds_write_b128 v40, v[12:15] offset:240
	v_fma_f64 v[0:1], v[4:5], s[12:13], v[2:3]
	v_fma_f64 v[2:3], v[4:5], s[4:5], v[2:3]
	v_add_f64 v[4:5], v[28:29], v[32:33]
	v_fma_f64 v[6:7], v[4:5], -0.5, v[102:103]
	v_fma_f64 v[4:5], v[8:9], s[4:5], v[6:7]
	v_fma_f64 v[6:7], v[8:9], s[12:13], v[6:7]
	v_add_f64 v[8:9], v[26:27], v[36:37]
	v_fma_f64 v[8:9], v[8:9], -0.5, v[20:21]
	v_fma_f64 v[12:13], v[10:11], s[12:13], v[8:9]
	v_fma_f64 v[14:15], v[10:11], s[4:5], v[8:9]
	v_add_f64 v[8:9], v[34:35], v[38:39]
	v_add_f64 v[10:11], v[26:27], -v[36:37]
	v_fma_f64 v[8:9], v[8:9], -0.5, v[24:25]
	v_fma_f64 v[16:17], v[10:11], s[4:5], v[8:9]
	v_fma_f64 v[18:19], v[10:11], s[12:13], v[8:9]
	v_mul_f64 v[10:11], v[12:13], s[4:5]
	v_mul_f64 v[8:9], v[16:17], s[12:13]
	v_fma_f64 v[8:9], v[12:13], 0.5, v[8:9]
	v_fma_f64 v[12:13], v[16:17], 0.5, v[10:11]
	v_mul_f64 v[10:11], v[14:15], -0.5
	v_mul_f64 v[16:17], v[18:19], -0.5
	v_add_f64 v[228:229], v[0:1], -v[8:9]
	v_add_f64 v[230:231], v[4:5], -v[12:13]
	v_fma_f64 v[10:11], v[18:19], s[12:13], v[10:11]
	v_fma_f64 v[14:15], v[14:15], s[4:5], v[16:17]
	v_add_f64 v[232:233], v[2:3], -v[10:11]
	v_add_f64 v[234:235], v[6:7], -v[14:15]
	s_and_saveexec_b32 s1, s0
	s_cbranch_execz .LBB0_11
; %bb.10:
	v_add_f64 v[12:13], v[4:5], v[12:13]
	v_add_f64 v[4:5], v[2:3], v[10:11]
	v_add_f64 v[10:11], v[0:1], v[8:9]
	s_clause 0x1
	buffer_load_dword v8, off, s[24:27], 0 offset:280
	buffer_load_dword v9, off, s[24:27], 0 offset:284
	v_add_f64 v[16:17], v[102:103], v[28:29]
	v_add_f64 v[18:19], v[24:25], v[34:35]
	;; [unrolled: 1-line block ×9, first 2 shown]
	v_add_f64 v[2:3], v[16:17], -v[18:19]
	v_add_f64 v[16:17], v[16:17], v[18:19]
	v_add_f64 v[14:15], v[22:23], v[20:21]
	v_add_f64 v[0:1], v[22:23], -v[20:21]
	s_waitcnt vmcnt(1)
	v_mul_u32_u24_sdwa v8, v8, v42 dst_sel:DWORD dst_unused:UNUSED_PAD src0_sel:WORD_0 src1_sel:DWORD
	s_waitcnt vmcnt(0)
	v_add_lshl_u32 v8, v8, v9, 4
	ds_write_b128 v8, v[228:231] offset:192
	ds_write_b128 v8, v[10:13] offset:48
	;; [unrolled: 1-line block ×3, first 2 shown]
	ds_write_b128 v8, v[14:17]
	ds_write_b128 v8, v[0:3] offset:144
	ds_write_b128 v8, v[232:235] offset:240
.LBB0_11:
	s_or_b32 exec_lo, exec_lo, s1
	v_mul_lo_u16 v0, v50, 57
	buffer_store_dword v174, off, s[24:27], 0 ; 4-byte Folded Spill
	s_waitcnt lgkmcnt(0)
	s_waitcnt_vscnt null, 0x0
	s_barrier
	buffer_gl0_inv
	v_lshrrev_b16 v16, 10, v0
	s_mov_b32 s4, 0x667f3bcd
	s_mov_b32 s5, 0xbfe6a09e
	;; [unrolled: 1-line block ×4, first 2 shown]
	v_mul_lo_u16 v0, v16, 18
	s_mov_b32 s14, 0xcf328d46
	s_mov_b32 s15, 0xbfed906b
	;; [unrolled: 1-line block ×4, first 2 shown]
	v_sub_nc_u16 v0, v174, v0
	s_mov_b32 s18, 0xa6aea964
	s_mov_b32 s19, 0xbfd87de2
	;; [unrolled: 1-line block ×4, first 2 shown]
	v_and_b32_e32 v17, 0xff, v0
	v_mad_u64_u32 v[26:27], null, 0xf0, v17, s[2:3]
	s_clause 0x7
	global_load_dwordx4 v[112:115], v[26:27], off offset:240
	global_load_dwordx4 v[108:111], v[26:27], off offset:256
	global_load_dwordx4 v[100:103], v[26:27], off offset:272
	global_load_dwordx4 v[104:107], v[26:27], off offset:288
	global_load_dwordx4 v[140:143], v[26:27], off offset:304
	global_load_dwordx4 v[144:147], v[26:27], off offset:320
	global_load_dwordx4 v[136:139], v[26:27], off offset:336
	global_load_dwordx4 v[148:151], v[26:27], off offset:352
	ds_read_b128 v[0:3], v56 offset:864
	ds_read_b128 v[4:7], v56 offset:1728
	;; [unrolled: 1-line block ×3, first 2 shown]
	ds_read_b128 v[12:15], v56
	ds_read_b128 v[18:21], v56 offset:3456
	ds_read_b128 v[22:25], v56 offset:4320
	s_waitcnt vmcnt(7) lgkmcnt(5)
	v_mul_f64 v[28:29], v[2:3], v[114:115]
	v_mul_f64 v[30:31], v[0:1], v[114:115]
	s_waitcnt vmcnt(6) lgkmcnt(4)
	v_mul_f64 v[32:33], v[6:7], v[110:111]
	v_mul_f64 v[34:35], v[4:5], v[110:111]
	;; [unrolled: 3-line block ×5, first 2 shown]
	v_fma_f64 v[28:29], v[0:1], v[112:113], -v[28:29]
	v_fma_f64 v[30:31], v[2:3], v[112:113], v[30:31]
	ds_read_b128 v[0:3], v56 offset:5184
	v_fma_f64 v[32:33], v[4:5], v[108:109], -v[32:33]
	v_fma_f64 v[34:35], v[6:7], v[108:109], v[34:35]
	ds_read_b128 v[4:7], v56 offset:6048
	v_fma_f64 v[36:37], v[8:9], v[100:101], -v[36:37]
	v_fma_f64 v[38:39], v[10:11], v[100:101], v[38:39]
	v_fma_f64 v[18:19], v[18:19], v[104:105], -v[40:41]
	v_fma_f64 v[20:21], v[20:21], v[104:105], v[42:43]
	;; [unrolled: 2-line block ×3, first 2 shown]
	s_waitcnt vmcnt(2) lgkmcnt(1)
	v_mul_f64 v[8:9], v[2:3], v[146:147]
	v_mul_f64 v[10:11], v[0:1], v[146:147]
	s_waitcnt vmcnt(1) lgkmcnt(0)
	v_mul_f64 v[40:41], v[6:7], v[138:139]
	v_fma_f64 v[42:43], v[0:1], v[144:145], -v[8:9]
	v_mul_f64 v[0:1], v[4:5], v[138:139]
	v_fma_f64 v[44:45], v[2:3], v[144:145], v[10:11]
	v_fma_f64 v[40:41], v[4:5], v[136:137], -v[40:41]
	v_fma_f64 v[46:47], v[6:7], v[136:137], v[0:1]
	ds_read_b128 v[0:3], v56 offset:6912
	ds_read_b128 v[4:7], v56 offset:7776
	s_clause 0x1
	global_load_dwordx4 v[160:163], v[26:27], off offset:368
	global_load_dwordx4 v[152:155], v[26:27], off offset:384
	s_waitcnt vmcnt(2) lgkmcnt(1)
	v_mul_f64 v[8:9], v[2:3], v[150:151]
	v_fma_f64 v[8:9], v[0:1], v[148:149], -v[8:9]
	v_mul_f64 v[0:1], v[0:1], v[150:151]
	v_fma_f64 v[10:11], v[2:3], v[148:149], v[0:1]
	s_waitcnt vmcnt(1) lgkmcnt(0)
	v_mul_f64 v[0:1], v[6:7], v[162:163]
	v_fma_f64 v[50:51], v[4:5], v[160:161], -v[0:1]
	v_mul_f64 v[0:1], v[4:5], v[162:163]
	v_fma_f64 v[180:181], v[6:7], v[160:161], v[0:1]
	ds_read_b128 v[0:3], v56 offset:8640
	ds_read_b128 v[4:7], v56 offset:9504
	s_waitcnt vmcnt(0) lgkmcnt(1)
	v_mul_f64 v[156:157], v[2:3], v[154:155]
	v_fma_f64 v[182:183], v[0:1], v[152:153], -v[156:157]
	s_clause 0x1
	global_load_dwordx4 v[156:159], v[26:27], off offset:400
	global_load_dwordx4 v[172:175], v[26:27], off offset:416
	v_mul_f64 v[0:1], v[0:1], v[154:155]
	v_fma_f64 v[184:185], v[2:3], v[152:153], v[0:1]
	s_waitcnt vmcnt(1) lgkmcnt(0)
	v_mul_f64 v[0:1], v[6:7], v[158:159]
	v_fma_f64 v[186:187], v[4:5], v[156:157], -v[0:1]
	v_mul_f64 v[0:1], v[4:5], v[158:159]
	v_fma_f64 v[191:192], v[6:7], v[156:157], v[0:1]
	ds_read_b128 v[0:3], v56 offset:10368
	ds_read_b128 v[4:7], v56 offset:11232
	s_clause 0x1
	global_load_dwordx4 v[168:171], v[26:27], off offset:432
	global_load_dwordx4 v[176:179], v[26:27], off offset:448
	s_waitcnt vmcnt(2) lgkmcnt(1)
	v_mul_f64 v[164:165], v[2:3], v[174:175]
	v_fma_f64 v[193:194], v[0:1], v[172:173], -v[164:165]
	v_mul_f64 v[0:1], v[0:1], v[174:175]
	v_add_f64 v[193:194], v[18:19], -v[193:194]
	v_fma_f64 v[195:196], v[2:3], v[172:173], v[0:1]
	v_fma_f64 v[18:19], v[18:19], 2.0, -v[193:194]
	v_add_f64 v[195:196], v[20:21], -v[195:196]
	v_fma_f64 v[20:21], v[20:21], 2.0, -v[195:196]
	s_waitcnt vmcnt(1) lgkmcnt(0)
	v_mul_f64 v[0:1], v[6:7], v[170:171]
	v_fma_f64 v[197:198], v[4:5], v[168:169], -v[0:1]
	v_mul_f64 v[0:1], v[4:5], v[170:171]
	v_fma_f64 v[199:200], v[6:7], v[168:169], v[0:1]
	ds_read_b128 v[0:3], v56 offset:12096
	ds_read_b128 v[4:7], v56 offset:12960
	s_waitcnt vmcnt(0) lgkmcnt(1)
	v_mul_f64 v[164:165], v[2:3], v[178:179]
	v_fma_f64 v[201:202], v[0:1], v[176:177], -v[164:165]
	global_load_dwordx4 v[164:167], v[26:27], off offset:464
	v_mul_f64 v[0:1], v[0:1], v[178:179]
	s_waitcnt vmcnt(0) lgkmcnt(0)
	s_barrier
	buffer_gl0_inv
	v_fma_f64 v[203:204], v[2:3], v[176:177], v[0:1]
	v_add_f64 v[2:3], v[14:15], -v[10:11]
	v_add_f64 v[10:11], v[28:29], -v[50:51]
	v_add_f64 v[50:51], v[22:23], -v[197:198]
	v_fma_f64 v[209:210], v[14:15], 2.0, -v[2:3]
	v_add_f64 v[14:15], v[36:37], -v[186:187]
	v_fma_f64 v[22:23], v[22:23], 2.0, -v[50:51]
	v_add_f64 v[193:194], v[2:3], v[193:194]
	v_add_f64 v[197:198], v[209:210], -v[20:21]
	v_fma_f64 v[36:37], v[36:37], 2.0, -v[14:15]
	v_mul_f64 v[0:1], v[6:7], v[166:167]
	v_fma_f64 v[26:27], v[4:5], v[164:165], -v[0:1]
	v_mul_f64 v[0:1], v[4:5], v[166:167]
	v_add_f64 v[4:5], v[32:33], -v[182:183]
	v_add_f64 v[182:183], v[42:43], -v[201:202]
	;; [unrolled: 1-line block ×3, first 2 shown]
	v_fma_f64 v[205:206], v[6:7], v[164:165], v[0:1]
	v_add_f64 v[0:1], v[12:13], -v[8:9]
	v_add_f64 v[8:9], v[30:31], -v[180:181]
	;; [unrolled: 1-line block ×5, first 2 shown]
	v_fma_f64 v[32:33], v[32:33], 2.0, -v[4:5]
	v_fma_f64 v[42:43], v[42:43], 2.0, -v[182:183]
	;; [unrolled: 1-line block ×3, first 2 shown]
	v_add_f64 v[186:187], v[46:47], -v[205:206]
	v_fma_f64 v[207:208], v[12:13], 2.0, -v[0:1]
	v_add_f64 v[12:13], v[38:39], -v[191:192]
	v_fma_f64 v[30:31], v[30:31], 2.0, -v[8:9]
	v_fma_f64 v[24:25], v[24:25], 2.0, -v[180:181]
	;; [unrolled: 1-line block ×5, first 2 shown]
	v_add_f64 v[42:43], v[32:33], -v[42:43]
	v_add_f64 v[195:196], v[0:1], -v[195:196]
	;; [unrolled: 1-line block ×3, first 2 shown]
	v_add_f64 v[182:183], v[6:7], v[182:183]
	v_add_f64 v[180:181], v[10:11], -v[180:181]
	v_add_f64 v[50:51], v[8:9], v[50:51]
	v_add_f64 v[40:41], v[36:37], -v[40:41]
	v_fma_f64 v[28:29], v[46:47], 2.0, -v[186:187]
	v_add_f64 v[46:47], v[207:208], -v[18:19]
	v_fma_f64 v[38:39], v[38:39], 2.0, -v[12:13]
	v_add_f64 v[186:187], v[14:15], -v[186:187]
	v_add_f64 v[201:202], v[30:31], -v[24:25]
	;; [unrolled: 1-line block ×4, first 2 shown]
	v_add_f64 v[211:212], v[197:198], v[42:43]
	v_fma_f64 v[32:33], v[32:33], 2.0, -v[42:43]
	v_fma_f64 v[10:11], v[10:11], 2.0, -v[180:181]
	;; [unrolled: 1-line block ×3, first 2 shown]
	v_add_f64 v[203:204], v[38:39], -v[28:29]
	v_fma_f64 v[14:15], v[14:15], 2.0, -v[186:187]
	v_add_f64 v[24:25], v[201:202], v[40:41]
	v_add_f64 v[205:206], v[46:47], -v[44:45]
	v_fma_f64 v[34:35], v[34:35], 2.0, -v[44:45]
	v_fma_f64 v[215:216], v[197:198], 2.0, -v[211:212]
	;; [unrolled: 1-line block ×5, first 2 shown]
	v_add_f64 v[22:23], v[199:200], -v[203:204]
	v_fma_f64 v[30:31], v[38:39], 2.0, -v[203:204]
	v_fma_f64 v[20:21], v[24:25], s[12:13], v[211:212]
	v_mov_b32_e32 v38, 0x120
	v_fma_f64 v[213:214], v[46:47], 2.0, -v[205:206]
	v_fma_f64 v[46:47], v[207:208], 2.0, -v[46:47]
	v_mul_u32_u24_sdwa v16, v16, v38 dst_sel:DWORD dst_unused:UNUSED_PAD src0_sel:WORD_0 src1_sel:DWORD
	v_add_f64 v[38:39], v[197:198], -v[34:35]
	v_add_f64 v[191:192], v[42:43], -v[36:37]
	v_or_b32_e32 v48, v16, v17
	v_lshlrev_b32_e32 v57, 4, v48
	v_fma_f64 v[18:19], v[22:23], s[12:13], v[205:206]
	v_fma_f64 v[28:29], v[199:200], 2.0, -v[22:23]
	v_fma_f64 v[20:21], v[22:23], s[12:13], v[20:21]
	v_fma_f64 v[22:23], v[201:202], 2.0, -v[24:25]
	v_add_f64 v[40:41], v[44:45], -v[30:31]
	v_add_f64 v[16:17], v[46:47], -v[32:33]
	v_add_f64 v[32:33], v[38:39], v[191:192]
	v_fma_f64 v[18:19], v[24:25], s[4:5], v[18:19]
	v_fma_f64 v[24:25], v[28:29], s[4:5], v[213:214]
	;; [unrolled: 1-line block ×3, first 2 shown]
	v_add_f64 v[30:31], v[16:17], -v[40:41]
	v_fma_f64 v[36:37], v[38:39], 2.0, -v[32:33]
	ds_write_b128 v57, v[18:21] offset:4032
	v_fma_f64 v[22:23], v[22:23], s[4:5], v[24:25]
	v_fma_f64 v[24:25], v[28:29], s[12:13], v[217:218]
	v_add_f64 v[217:218], v[12:13], v[26:27]
	v_fma_f64 v[26:27], v[184:185], s[12:13], v[195:196]
	ds_write_b128 v57, v[30:33] offset:3456
	v_fma_f64 v[32:33], v[211:212], 2.0, -v[20:21]
	v_fma_f64 v[20:21], v[2:3], 2.0, -v[193:194]
	;; [unrolled: 1-line block ×8, first 2 shown]
	v_fma_f64 v[8:9], v[14:15], s[4:5], v[10:11]
	ds_write_b128 v57, v[34:37] offset:1152
	ds_write_b128 v57, v[30:33] offset:1728
	v_fma_f64 v[219:220], v[182:183], s[4:5], v[26:27]
	v_fma_f64 v[26:27], v[182:183], s[12:13], v[193:194]
	;; [unrolled: 1-line block ×3, first 2 shown]
	v_fma_f64 v[6:7], v[12:13], 2.0, -v[217:218]
	v_fma_f64 v[12:13], v[2:3], s[4:5], v[20:21]
	ds_write_b128 v57, v[22:25] offset:2880
	v_fma_f64 v[221:222], v[184:185], s[12:13], v[26:27]
	v_fma_f64 v[26:27], v[186:187], s[12:13], v[180:181]
	;; [unrolled: 1-line block ×5, first 2 shown]
	v_fma_f64 v[240:241], v[193:194], 2.0, -v[221:222]
	v_fma_f64 v[26:27], v[217:218], s[4:5], v[26:27]
	v_fma_f64 v[225:226], v[28:29], s[22:23], v[221:222]
	v_fma_f64 v[10:11], v[10:11], 2.0, -v[8:9]
	v_fma_f64 v[6:7], v[14:15], s[12:13], v[6:7]
	v_fma_f64 v[14:15], v[197:198], 2.0, -v[38:39]
	v_fma_f64 v[223:224], v[26:27], s[22:23], v[219:220]
	v_fma_f64 v[238:239], v[26:27], s[20:21], v[225:226]
	v_fma_f64 v[225:226], v[195:196], 2.0, -v[219:220]
	v_fma_f64 v[4:5], v[4:5], 2.0, -v[6:7]
	v_fma_f64 v[236:237], v[28:29], s[18:19], v[223:224]
	v_fma_f64 v[223:224], v[180:181], 2.0, -v[26:27]
	v_fma_f64 v[26:27], v[50:51], 2.0, -v[28:29]
	v_fma_f64 v[50:51], v[0:1], s[12:13], v[12:13]
	v_fma_f64 v[0:1], v[0:1], s[4:5], v[18:19]
	;; [unrolled: 1-line block ×4, first 2 shown]
	v_fma_f64 v[184:185], v[20:21], 2.0, -v[50:51]
	v_fma_f64 v[180:181], v[2:3], s[4:5], v[0:1]
	v_fma_f64 v[0:1], v[6:7], s[20:21], v[50:51]
	;; [unrolled: 1-line block ×5, first 2 shown]
	v_fma_f64 v[182:183], v[18:19], 2.0, -v[180:181]
	v_fma_f64 v[2:3], v[8:9], s[22:23], v[0:1]
	v_fma_f64 v[8:9], v[4:5], s[14:15], v[184:185]
	v_fma_f64 v[18:19], v[240:241], 2.0, -v[28:29]
	ds_write_b128 v57, v[26:29] offset:3168
	v_fma_f64 v[0:1], v[6:7], s[14:15], v[12:13]
	v_fma_f64 v[6:7], v[10:11], s[14:15], v[182:183]
	v_fma_f64 v[12:13], v[46:47], 2.0, -v[16:17]
	v_fma_f64 v[16:17], v[225:226], 2.0, -v[26:27]
	;; [unrolled: 1-line block ×3, first 2 shown]
	v_fma_f64 v[4:5], v[4:5], s[18:19], v[6:7]
	v_fma_f64 v[6:7], v[10:11], s[20:21], v[8:9]
	v_fma_f64 v[8:9], v[219:220], 2.0, -v[236:237]
	v_fma_f64 v[10:11], v[221:222], 2.0, -v[238:239]
	ds_write_b128 v57, v[8:11] offset:2016
	v_fma_f64 v[8:9], v[42:43], 2.0, -v[191:192]
	v_fma_f64 v[10:11], v[44:45], 2.0, -v[40:41]
	v_add_f64 v[8:9], v[12:13], -v[8:9]
	v_add_f64 v[10:11], v[14:15], -v[10:11]
	v_fma_f64 v[12:13], v[12:13], 2.0, -v[8:9]
	v_fma_f64 v[14:15], v[14:15], 2.0, -v[10:11]
	ds_write_b128 v57, v[8:11] offset:2304
	v_fma_f64 v[8:9], v[213:214], 2.0, -v[22:23]
	v_fma_f64 v[10:11], v[215:216], 2.0, -v[24:25]
	;; [unrolled: 1-line block ×3, first 2 shown]
	ds_write_b128 v57, v[0:3] offset:3744
	ds_write_b128 v57, v[12:15]
	ds_write_b128 v57, v[8:11] offset:576
	ds_write_b128 v57, v[16:19] offset:864
	;; [unrolled: 1-line block ×3, first 2 shown]
	v_fma_f64 v[0:1], v[182:183], 2.0, -v[4:5]
	v_fma_f64 v[2:3], v[184:185], 2.0, -v[6:7]
	ds_write_b128 v57, v[236:239] offset:4320
	ds_write_b128 v57, v[4:7] offset:2592
	;; [unrolled: 1-line block ×3, first 2 shown]
	s_waitcnt lgkmcnt(0)
	s_barrier
	buffer_gl0_inv
	ds_read_b128 v[0:3], v56
	ds_read_b128 v[252:255], v56 offset:864
	ds_read_b128 v[36:39], v56 offset:9216
	;; [unrolled: 1-line block ×14, first 2 shown]
	s_and_saveexec_b32 s1, vcc_lo
	s_cbranch_execz .LBB0_13
; %bb.12:
	ds_read_b128 v[236:239], v56 offset:4320
	ds_read_b128 v[228:231], v56 offset:8928
	;; [unrolled: 1-line block ×3, first 2 shown]
.LBB0_13:
	s_or_b32 exec_lo, exec_lo, s1
	buffer_load_dword v60, off, s[24:27], 0 ; 4-byte Folded Reload
	s_mov_b32 s5, 0xbfebb67a
	s_waitcnt vmcnt(0)
	v_lshlrev_b32_e32 v44, 5, v60
	v_add_co_u32 v46, s1, s2, v44
	v_add_co_ci_u32_e64 v47, null, s3, 0, s1
	v_add_co_u32 v44, s1, 0x1000, v46
	v_add_co_ci_u32_e64 v45, s1, 0, v47, s1
	v_add_co_u32 v46, s1, 0x11d0, v46
	v_add_co_ci_u32_e64 v47, s1, 0, v47, s1
	s_clause 0x1
	global_load_dwordx4 v[180:183], v[44:45], off offset:464
	global_load_dwordx4 v[184:187], v[46:47], off offset:16
	s_waitcnt vmcnt(1) lgkmcnt(4)
	v_mul_f64 v[44:45], v[42:43], v[182:183]
	v_fma_f64 v[44:45], v[40:41], v[180:181], -v[44:45]
	v_mul_f64 v[40:41], v[40:41], v[182:183]
	v_fma_f64 v[40:41], v[42:43], v[180:181], v[40:41]
	s_waitcnt vmcnt(0)
	v_mul_f64 v[42:43], v[38:39], v[186:187]
	v_fma_f64 v[42:43], v[36:37], v[184:185], -v[42:43]
	v_mul_f64 v[36:37], v[36:37], v[186:187]
	v_fma_f64 v[36:37], v[38:39], v[184:185], v[36:37]
	v_lshlrev_b32_e32 v38, 5, v190
	v_add_co_u32 v46, s1, s2, v38
	v_add_co_ci_u32_e64 v47, null, s3, 0, s1
	v_add_co_u32 v38, s1, 0x1000, v46
	v_add_co_ci_u32_e64 v39, s1, 0, v47, s1
	v_add_co_u32 v46, s1, 0x11d0, v46
	v_add_co_ci_u32_e64 v47, s1, 0, v47, s1
	s_clause 0x1
	global_load_dwordx4 v[196:199], v[38:39], off offset:464
	global_load_dwordx4 v[200:203], v[46:47], off offset:16
	s_waitcnt vmcnt(1)
	v_mul_f64 v[38:39], v[34:35], v[198:199]
	v_fma_f64 v[38:39], v[32:33], v[196:197], -v[38:39]
	v_mul_f64 v[32:33], v[32:33], v[198:199]
	v_fma_f64 v[32:33], v[34:35], v[196:197], v[32:33]
	s_waitcnt vmcnt(0)
	v_mul_f64 v[34:35], v[30:31], v[202:203]
	v_fma_f64 v[34:35], v[28:29], v[200:201], -v[34:35]
	v_mul_f64 v[28:29], v[28:29], v[202:203]
	v_fma_f64 v[28:29], v[30:31], v[200:201], v[28:29]
	v_lshlrev_b32_e32 v30, 5, v189
	v_add_co_u32 v46, s1, s2, v30
	v_add_co_ci_u32_e64 v47, null, s3, 0, s1
	v_add_co_u32 v30, s1, 0x1000, v46
	v_add_co_ci_u32_e64 v31, s1, 0, v47, s1
	v_add_co_u32 v46, s1, 0x11d0, v46
	v_add_co_ci_u32_e64 v47, s1, 0, v47, s1
	s_clause 0x1
	global_load_dwordx4 v[204:207], v[30:31], off offset:464
	global_load_dwordx4 v[208:211], v[46:47], off offset:16
	s_waitcnt vmcnt(1)
	v_mul_f64 v[30:31], v[22:23], v[206:207]
	v_fma_f64 v[30:31], v[20:21], v[204:205], -v[30:31]
	v_mul_f64 v[20:21], v[20:21], v[206:207]
	v_fma_f64 v[46:47], v[22:23], v[204:205], v[20:21]
	s_waitcnt vmcnt(0)
	v_mul_f64 v[20:21], v[26:27], v[210:211]
	v_fma_f64 v[50:51], v[24:25], v[208:209], -v[20:21]
	v_mul_f64 v[20:21], v[24:25], v[210:211]
	v_fma_f64 v[24:25], v[26:27], v[208:209], v[20:21]
	v_lshlrev_b32_e32 v20, 5, v188
	v_add_f64 v[26:27], v[38:39], -v[34:35]
	v_add_co_u32 v22, s1, s2, v20
	v_add_co_ci_u32_e64 v23, null, s3, 0, s1
	v_add_co_u32 v20, s1, 0x1000, v22
	v_add_co_ci_u32_e64 v21, s1, 0, v23, s1
	v_add_co_u32 v22, s1, 0x11d0, v22
	v_add_co_ci_u32_e64 v23, s1, 0, v23, s1
	s_clause 0x1
	global_load_dwordx4 v[216:219], v[20:21], off offset:464
	global_load_dwordx4 v[212:215], v[22:23], off offset:16
	s_waitcnt vmcnt(1) lgkmcnt(2)
	v_mul_f64 v[20:21], v[18:19], v[218:219]
	v_fma_f64 v[188:189], v[16:17], v[216:217], -v[20:21]
	v_mul_f64 v[16:17], v[16:17], v[218:219]
	v_add_f64 v[20:21], v[32:33], -v[28:29]
	v_fma_f64 v[190:191], v[18:19], v[216:217], v[16:17]
	s_waitcnt vmcnt(0)
	v_mul_f64 v[16:17], v[14:15], v[214:215]
	v_fma_f64 v[54:55], v[12:13], v[212:213], -v[16:17]
	v_mul_f64 v[12:13], v[12:13], v[214:215]
	v_add_f64 v[16:17], v[252:253], v[38:39]
	v_fma_f64 v[48:49], v[14:15], v[212:213], v[12:13]
	v_lshlrev_b32_e32 v12, 5, v53
	v_add_co_u32 v14, s1, s2, v12
	v_add_co_ci_u32_e64 v15, null, s3, 0, s1
	v_add_co_u32 v12, s1, 0x1000, v14
	v_add_co_ci_u32_e64 v13, s1, 0, v15, s1
	v_add_co_u32 v14, s1, 0x11d0, v14
	v_add_co_ci_u32_e64 v15, s1, 0, v15, s1
	s_clause 0x1
	global_load_dwordx4 v[220:223], v[12:13], off offset:464
	global_load_dwordx4 v[224:227], v[14:15], off offset:16
	s_waitcnt vmcnt(1) lgkmcnt(1)
	v_mul_f64 v[12:13], v[10:11], v[222:223]
	v_fma_f64 v[52:53], v[8:9], v[220:221], -v[12:13]
	v_mul_f64 v[8:9], v[8:9], v[222:223]
	v_fma_f64 v[58:59], v[10:11], v[220:221], v[8:9]
	s_waitcnt vmcnt(0) lgkmcnt(0)
	v_mul_f64 v[8:9], v[6:7], v[226:227]
	v_fma_f64 v[192:193], v[4:5], v[224:225], -v[8:9]
	v_mul_f64 v[4:5], v[4:5], v[226:227]
	v_fma_f64 v[194:195], v[6:7], v[224:225], v[4:5]
	buffer_load_dword v6, off, s[24:27], 0 offset:336 ; 4-byte Folded Reload
	v_add_co_u32 v4, s1, 0xffffffee, v60
	v_add_co_ci_u32_e64 v5, null, 0, -1, s1
	v_cndmask_b32_e32 v4, v4, v62, vcc_lo
	s_waitcnt vmcnt(0)
	v_cndmask_b32_e32 v5, v5, v6, vcc_lo
	v_lshlrev_b64 v[4:5], 5, v[4:5]
	v_add_co_u32 v6, s1, s2, v4
	v_add_co_ci_u32_e64 v7, s1, s3, v5, s1
	s_mov_b32 s2, 0xe8584caa
	v_add_co_u32 v4, s1, 0x1000, v6
	v_add_co_ci_u32_e64 v5, s1, 0, v7, s1
	v_add_co_u32 v6, s1, 0x11d0, v6
	v_add_co_ci_u32_e64 v7, s1, 0, v7, s1
	s_clause 0x1
	global_load_dwordx4 v[8:11], v[4:5], off offset:464
	global_load_dwordx4 v[12:15], v[6:7], off offset:16
	s_mov_b32 s3, 0x3febb67a
	s_mov_b32 s4, s2
	s_waitcnt vmcnt(1)
	v_mul_f64 v[4:5], v[230:231], v[10:11]
	v_fma_f64 v[60:61], v[228:229], v[8:9], -v[4:5]
	v_mul_f64 v[4:5], v[228:229], v[10:11]
	buffer_store_dword v8, off, s[24:27], 0 offset:336 ; 4-byte Folded Spill
	buffer_store_dword v9, off, s[24:27], 0 offset:340 ; 4-byte Folded Spill
	;; [unrolled: 1-line block ×4, first 2 shown]
	v_fma_f64 v[62:63], v[230:231], v[8:9], v[4:5]
	s_waitcnt vmcnt(0)
	v_mul_f64 v[4:5], v[234:235], v[14:15]
	v_add_f64 v[8:9], v[40:41], -v[36:37]
	v_fma_f64 v[228:229], v[232:233], v[12:13], -v[4:5]
	v_mul_f64 v[4:5], v[232:233], v[14:15]
	buffer_store_dword v12, off, s[24:27], 0 offset:356 ; 4-byte Folded Spill
	buffer_store_dword v13, off, s[24:27], 0 offset:360 ; 4-byte Folded Spill
	;; [unrolled: 1-line block ×4, first 2 shown]
	v_fma_f64 v[230:231], v[234:235], v[12:13], v[4:5]
	v_add_f64 v[4:5], v[44:45], v[42:43]
	v_add_f64 v[12:13], v[44:45], -v[42:43]
	v_fma_f64 v[6:7], v[4:5], -0.5, v[0:1]
	v_add_f64 v[4:5], v[40:41], v[36:37]
	v_add_f64 v[0:1], v[0:1], v[44:45]
	v_add_f64 v[44:45], v[190:191], -v[48:49]
	v_fma_f64 v[10:11], v[4:5], -0.5, v[2:3]
	v_fma_f64 v[4:5], v[8:9], s[2:3], v[6:7]
	v_fma_f64 v[8:9], v[8:9], s[4:5], v[6:7]
	v_add_f64 v[2:3], v[2:3], v[40:41]
	v_add_f64 v[0:1], v[0:1], v[42:43]
	;; [unrolled: 1-line block ×3, first 2 shown]
	v_fma_f64 v[6:7], v[12:13], s[4:5], v[10:11]
	v_fma_f64 v[10:11], v[12:13], s[2:3], v[10:11]
	v_add_f64 v[12:13], v[38:39], v[34:35]
	v_add_f64 v[2:3], v[2:3], v[36:37]
	v_add_f64 v[36:37], v[46:47], -v[24:25]
	v_add_f64 v[38:39], v[30:31], -v[50:51]
	v_fma_f64 v[18:19], v[12:13], -0.5, v[252:253]
	v_add_f64 v[12:13], v[32:33], v[28:29]
	v_fma_f64 v[22:23], v[12:13], -0.5, v[254:255]
	v_add_f64 v[12:13], v[254:255], v[32:33]
	v_add_f64 v[14:15], v[12:13], v[28:29]
	;; [unrolled: 1-line block ×3, first 2 shown]
	v_fma_f64 v[16:17], v[20:21], s[2:3], v[18:19]
	v_fma_f64 v[20:21], v[20:21], s[4:5], v[18:19]
	;; [unrolled: 1-line block ×4, first 2 shown]
	v_add_f64 v[26:27], v[30:31], v[50:51]
	v_add_f64 v[28:29], v[248:249], v[30:31]
	v_fma_f64 v[32:33], v[26:27], -0.5, v[248:249]
	v_add_f64 v[26:27], v[46:47], v[24:25]
	v_fma_f64 v[34:35], v[26:27], -0.5, v[250:251]
	v_add_f64 v[26:27], v[250:251], v[46:47]
	v_fma_f64 v[30:31], v[38:39], s[4:5], v[34:35]
	v_add_f64 v[26:27], v[26:27], v[24:25]
	v_add_f64 v[24:25], v[28:29], v[50:51]
	v_fma_f64 v[28:29], v[36:37], s[2:3], v[32:33]
	v_fma_f64 v[32:33], v[36:37], s[4:5], v[32:33]
	v_add_f64 v[36:37], v[188:189], v[54:55]
	v_fma_f64 v[34:35], v[38:39], s[2:3], v[34:35]
	v_fma_f64 v[42:43], v[36:37], -0.5, v[244:245]
	v_add_f64 v[36:37], v[190:191], v[48:49]
	v_fma_f64 v[46:47], v[36:37], -0.5, v[246:247]
	v_add_f64 v[36:37], v[246:247], v[190:191]
	v_add_f64 v[190:191], v[240:241], v[52:53]
	;; [unrolled: 1-line block ×3, first 2 shown]
	v_add_f64 v[48:49], v[188:189], -v[54:55]
	v_add_f64 v[36:37], v[40:41], v[54:55]
	v_fma_f64 v[40:41], v[44:45], s[2:3], v[42:43]
	v_fma_f64 v[44:45], v[44:45], s[4:5], v[42:43]
	;; [unrolled: 1-line block ×4, first 2 shown]
	v_add_f64 v[48:49], v[52:53], v[192:193]
	v_add_f64 v[52:53], v[52:53], -v[192:193]
	v_fma_f64 v[54:55], v[48:49], -0.5, v[240:241]
	v_add_f64 v[48:49], v[58:59], v[194:195]
	v_fma_f64 v[188:189], v[48:49], -0.5, v[242:243]
	v_add_f64 v[48:49], v[242:243], v[58:59]
	v_add_f64 v[58:59], v[58:59], -v[194:195]
	v_fma_f64 v[242:243], v[52:53], s[4:5], v[188:189]
	v_fma_f64 v[246:247], v[52:53], s[2:3], v[188:189]
	;; [unrolled: 1-line block ×4, first 2 shown]
	v_add_f64 v[52:53], v[60:61], v[228:229]
	v_add_f64 v[54:55], v[62:63], v[230:231]
	;; [unrolled: 1-line block ×4, first 2 shown]
	v_add_f64 v[62:63], v[62:63], -v[230:231]
	v_add_f64 v[50:51], v[48:49], v[194:195]
	v_add_f64 v[48:49], v[190:191], v[192:193]
	ds_write_b128 v56, v[0:3]
	ds_write_b128 v56, v[12:15] offset:864
	ds_write_b128 v56, v[4:7] offset:4608
	;; [unrolled: 1-line block ×14, first 2 shown]
	v_fma_f64 v[52:53], v[52:53], -0.5, v[236:237]
	v_fma_f64 v[54:55], v[54:55], -0.5, v[238:239]
	v_add_f64 v[238:239], v[58:59], v[230:231]
	v_add_f64 v[58:59], v[60:61], -v[228:229]
	v_add_f64 v[236:237], v[188:189], v[228:229]
	v_fma_f64 v[228:229], v[62:63], s[2:3], v[52:53]
	v_fma_f64 v[232:233], v[62:63], s[4:5], v[52:53]
	;; [unrolled: 1-line block ×4, first 2 shown]
	s_and_saveexec_b32 s1, vcc_lo
	s_cbranch_execz .LBB0_15
; %bb.14:
	ds_write_b128 v56, v[236:239] offset:4320
	ds_write_b128 v56, v[228:231] offset:8928
	;; [unrolled: 1-line block ×3, first 2 shown]
.LBB0_15:
	s_or_b32 exec_lo, exec_lo, s1
	s_waitcnt lgkmcnt(0)
	s_waitcnt_vscnt null, 0x0
	s_barrier
	buffer_gl0_inv
	s_clause 0x1
	buffer_load_dword v0, off, s[24:27], 0 offset:332
	buffer_load_dword v192, off, s[24:27], 0
	s_add_u32 s2, s16, 0x3600
	s_addc_u32 s3, s17, 0
	s_waitcnt vmcnt(1)
	global_load_dwordx4 v[10:13], v0, s[2:3]
	s_waitcnt vmcnt(1)
	v_lshlrev_b32_e32 v0, 4, v192
	s_clause 0x2
	global_load_dwordx4 v[14:17], v0, s[2:3]
	global_load_dwordx4 v[18:21], v0, s[2:3] offset:864
	global_load_dwordx4 v[22:25], v0, s[2:3] offset:1728
	v_add_co_u32 v8, s1, s2, v0
	v_add_co_ci_u32_e64 v9, null, s3, 0, s1
	v_add_co_u32 v6, s1, 0x1000, v8
	v_add_co_ci_u32_e64 v7, s1, 0, v9, s1
	s_clause 0x1
	global_load_dwordx4 v[26:29], v[6:7], off offset:512
	global_load_dwordx4 v[30:33], v[6:7], off offset:1376
	v_add_co_u32 v4, s1, 0x2000, v8
	v_add_co_ci_u32_e64 v5, s1, 0, v9, s1
	v_add_co_u32 v54, s1, 0x1800, v8
	v_add_co_ci_u32_e64 v55, s1, 0, v9, s1
	global_load_dwordx4 v[34:37], v[4:5], off offset:1888
	v_add_co_u32 v58, s1, 0x2800, v8
	global_load_dwordx4 v[38:41], v[54:55], off offset:192
	v_add_co_ci_u32_e64 v59, s1, 0, v9, s1
	ds_read_b128 v[0:3], v56 offset:9216
	ds_read_b128 v[46:49], v56
	v_add_co_u32 v60, s1, 0x800, v8
	global_load_dwordx4 v[42:45], v[58:59], off offset:704
	v_add_co_ci_u32_e64 v61, s1, 0, v9, s1
	v_add_co_u32 v8, s1, 0x3000, v8
	v_add_co_ci_u32_e64 v9, s1, 0, v9, s1
	ds_read_b128 v[244:247], v56 offset:3456
	ds_read_b128 v[240:243], v56 offset:11808
	ds_read_b128 v[252:255], v56 offset:12672
	ds_read_b128 v[248:251], v56 offset:8064
	s_waitcnt vmcnt(8) lgkmcnt(5)
	v_mul_f64 v[50:51], v[2:3], v[12:13]
	v_mul_f64 v[12:13], v[0:1], v[12:13]
	v_fma_f64 v[0:1], v[0:1], v[10:11], -v[50:51]
	v_fma_f64 v[2:3], v[2:3], v[10:11], v[12:13]
	ds_read_b128 v[10:13], v56 offset:864
	s_waitcnt vmcnt(7) lgkmcnt(5)
	v_mul_f64 v[62:63], v[48:49], v[16:17]
	global_load_dwordx4 v[50:53], v[60:61], off offset:544
	v_mul_f64 v[16:17], v[46:47], v[16:17]
	v_fma_f64 v[46:47], v[46:47], v[14:15], -v[62:63]
	s_waitcnt vmcnt(7) lgkmcnt(0)
	v_mul_f64 v[62:63], v[12:13], v[20:21]
	v_mul_f64 v[20:21], v[10:11], v[20:21]
	v_fma_f64 v[48:49], v[48:49], v[14:15], v[16:17]
	ds_read_b128 v[14:17], v56 offset:1728
	v_fma_f64 v[10:11], v[10:11], v[18:19], -v[62:63]
	v_fma_f64 v[12:13], v[12:13], v[18:19], v[20:21]
	global_load_dwordx4 v[18:21], v[54:55], off offset:1056
	s_waitcnt vmcnt(7) lgkmcnt(0)
	v_mul_f64 v[62:63], v[16:17], v[24:25]
	v_mul_f64 v[24:25], v[14:15], v[24:25]
	v_fma_f64 v[14:15], v[14:15], v[22:23], -v[62:63]
	v_fma_f64 v[16:17], v[16:17], v[22:23], v[24:25]
	ds_read_b128 v[22:25], v56 offset:4608
	s_waitcnt vmcnt(6) lgkmcnt(0)
	v_mul_f64 v[62:63], v[24:25], v[28:29]
	v_mul_f64 v[28:29], v[22:23], v[28:29]
	v_fma_f64 v[22:23], v[22:23], v[26:27], -v[62:63]
	v_fma_f64 v[24:25], v[24:25], v[26:27], v[28:29]
	ds_read_b128 v[26:29], v56 offset:5472
	;; [unrolled: 6-line block ×7, first 2 shown]
	s_waitcnt vmcnt(0) lgkmcnt(0)
	v_mul_f64 v[62:63], v[52:53], v[20:21]
	v_mul_f64 v[20:21], v[50:51], v[20:21]
	v_fma_f64 v[50:51], v[50:51], v[18:19], -v[62:63]
	v_fma_f64 v[52:53], v[52:53], v[18:19], v[20:21]
	global_load_dwordx4 v[18:21], v[58:59], off offset:1568
	s_waitcnt vmcnt(0)
	v_mul_f64 v[58:59], v[242:243], v[20:21]
	v_mul_f64 v[20:21], v[240:241], v[20:21]
	v_fma_f64 v[240:241], v[240:241], v[18:19], -v[58:59]
	v_fma_f64 v[242:243], v[242:243], v[18:19], v[20:21]
	global_load_dwordx4 v[18:21], v[60:61], off offset:1408
	s_waitcnt vmcnt(0)
	;; [unrolled: 6-line block ×4, first 2 shown]
	v_mul_f64 v[54:55], v[254:255], v[20:21]
	v_mul_f64 v[20:21], v[252:253], v[20:21]
	v_fma_f64 v[252:253], v[252:253], v[18:19], -v[54:55]
	v_fma_f64 v[254:255], v[254:255], v[18:19], v[20:21]
	ds_write_b128 v56, v[0:3] offset:9216
	ds_write_b128 v56, v[46:49]
	ds_write_b128 v56, v[10:13] offset:864
	ds_write_b128 v56, v[14:17] offset:1728
	;; [unrolled: 1-line block ×13, first 2 shown]
	s_and_saveexec_b32 s1, vcc_lo
	s_cbranch_execz .LBB0_17
; %bb.16:
	s_clause 0x2
	global_load_dwordx4 v[0:3], v[6:7], off offset:224
	global_load_dwordx4 v[4:7], v[4:5], off offset:736
	;; [unrolled: 1-line block ×3, first 2 shown]
	ds_read_b128 v[12:15], v56 offset:4320
	ds_read_b128 v[16:19], v56 offset:8928
	;; [unrolled: 1-line block ×3, first 2 shown]
	s_waitcnt vmcnt(2) lgkmcnt(2)
	v_mul_f64 v[24:25], v[14:15], v[2:3]
	v_mul_f64 v[2:3], v[12:13], v[2:3]
	s_waitcnt vmcnt(1) lgkmcnt(1)
	v_mul_f64 v[26:27], v[18:19], v[6:7]
	v_mul_f64 v[6:7], v[16:17], v[6:7]
	;; [unrolled: 3-line block ×3, first 2 shown]
	v_fma_f64 v[10:11], v[12:13], v[0:1], -v[24:25]
	v_fma_f64 v[12:13], v[14:15], v[0:1], v[2:3]
	v_fma_f64 v[0:1], v[16:17], v[4:5], -v[26:27]
	v_fma_f64 v[2:3], v[18:19], v[4:5], v[6:7]
	;; [unrolled: 2-line block ×3, first 2 shown]
	ds_write_b128 v56, v[10:13] offset:4320
	ds_write_b128 v56, v[0:3] offset:8928
	;; [unrolled: 1-line block ×3, first 2 shown]
.LBB0_17:
	s_or_b32 exec_lo, exec_lo, s1
	s_waitcnt lgkmcnt(0)
	s_barrier
	buffer_gl0_inv
	ds_read_b128 v[0:3], v56
	ds_read_b128 v[34:37], v56 offset:864
	ds_read_b128 v[46:49], v56 offset:9216
	;; [unrolled: 1-line block ×14, first 2 shown]
	s_and_saveexec_b32 s1, vcc_lo
	s_cbranch_execz .LBB0_19
; %bb.18:
	ds_read_b128 v[236:239], v56 offset:4320
	ds_read_b128 v[228:231], v56 offset:8928
	;; [unrolled: 1-line block ×3, first 2 shown]
.LBB0_19:
	s_or_b32 exec_lo, exec_lo, s1
	s_waitcnt lgkmcnt(4)
	v_add_f64 v[4:5], v[0:1], v[50:51]
	s_mov_b32 s2, 0xe8584caa
	s_mov_b32 s3, 0xbfebb67a
	;; [unrolled: 1-line block ×4, first 2 shown]
	s_waitcnt lgkmcnt(0)
	s_barrier
	buffer_gl0_inv
	v_add_f64 v[248:249], v[4:5], v[46:47]
	v_add_f64 v[4:5], v[50:51], v[46:47]
	v_fma_f64 v[0:1], v[4:5], -0.5, v[0:1]
	v_add_f64 v[4:5], v[52:53], -v[48:49]
	v_fma_f64 v[244:245], v[4:5], s[2:3], v[0:1]
	v_fma_f64 v[0:1], v[4:5], s[4:5], v[0:1]
	v_add_f64 v[4:5], v[2:3], v[52:53]
	v_add_f64 v[250:251], v[4:5], v[48:49]
	;; [unrolled: 1-line block ×3, first 2 shown]
	v_add_f64 v[48:49], v[44:45], -v[40:41]
	v_fma_f64 v[2:3], v[4:5], -0.5, v[2:3]
	v_add_f64 v[4:5], v[50:51], -v[46:47]
	v_fma_f64 v[246:247], v[4:5], s[4:5], v[2:3]
	v_fma_f64 v[2:3], v[4:5], s[2:3], v[2:3]
	v_add_f64 v[4:5], v[34:35], v[42:43]
	v_add_f64 v[46:47], v[4:5], v[38:39]
	v_add_f64 v[4:5], v[42:43], v[38:39]
	v_add_f64 v[38:39], v[42:43], -v[38:39]
	v_fma_f64 v[4:5], v[4:5], -0.5, v[34:35]
	v_fma_f64 v[34:35], v[48:49], s[2:3], v[4:5]
	v_fma_f64 v[50:51], v[48:49], s[4:5], v[4:5]
	v_add_f64 v[4:5], v[36:37], v[44:45]
	v_add_f64 v[48:49], v[4:5], v[40:41]
	v_add_f64 v[4:5], v[44:45], v[40:41]
	v_add_f64 v[40:41], v[24:25], -v[32:33]
	v_fma_f64 v[4:5], v[4:5], -0.5, v[36:37]
	;; [unrolled: 7-line block ×5, first 2 shown]
	v_fma_f64 v[30:31], v[24:25], s[2:3], v[4:5]
	v_fma_f64 v[188:189], v[24:25], s[4:5], v[4:5]
	v_add_f64 v[4:5], v[242:243], v[20:21]
	v_add_f64 v[24:25], v[4:5], v[254:255]
	;; [unrolled: 1-line block ×3, first 2 shown]
	v_fma_f64 v[4:5], v[4:5], -0.5, v[242:243]
	v_fma_f64 v[32:33], v[18:19], s[4:5], v[4:5]
	v_fma_f64 v[190:191], v[18:19], s[2:3], v[4:5]
	v_add_f64 v[4:5], v[10:11], v[6:7]
	v_add_f64 v[240:241], v[4:5], v[14:15]
	;; [unrolled: 1-line block ×3, first 2 shown]
	v_add_f64 v[6:7], v[6:7], -v[14:15]
	v_add_f64 v[14:15], v[230:231], v[234:235]
	v_fma_f64 v[4:5], v[4:5], -0.5, v[10:11]
	v_add_f64 v[10:11], v[8:9], -v[16:17]
	v_fma_f64 v[14:15], v[14:15], -0.5, v[238:239]
	v_fma_f64 v[252:253], v[10:11], s[2:3], v[4:5]
	v_fma_f64 v[4:5], v[10:11], s[4:5], v[4:5]
	v_add_f64 v[10:11], v[12:13], v[8:9]
	v_add_f64 v[8:9], v[8:9], v[16:17]
	;; [unrolled: 1-line block ×4, first 2 shown]
	v_fma_f64 v[8:9], v[8:9], -0.5, v[12:13]
	v_add_f64 v[12:13], v[230:231], -v[234:235]
	v_add_f64 v[16:17], v[228:229], -v[232:233]
	v_fma_f64 v[10:11], v[10:11], -0.5, v[236:237]
	v_fma_f64 v[254:255], v[6:7], s[4:5], v[8:9]
	v_fma_f64 v[6:7], v[6:7], s[2:3], v[8:9]
	v_add_f64 v[8:9], v[236:237], v[228:229]
	v_fma_f64 v[236:237], v[12:13], s[2:3], v[10:11]
	v_fma_f64 v[12:13], v[12:13], s[4:5], v[10:11]
	v_add_f64 v[10:11], v[238:239], v[230:231]
	v_fma_f64 v[238:239], v[16:17], s[4:5], v[14:15]
	v_fma_f64 v[14:15], v[16:17], s[2:3], v[14:15]
	buffer_load_dword v16, off, s[24:27], 0 offset:292 ; 4-byte Folded Reload
	v_add_f64 v[8:9], v[8:9], v[232:233]
	s_waitcnt vmcnt(0)
	ds_write_b128 v16, v[248:251]
	ds_write_b128 v16, v[244:247] offset:16
	ds_write_b128 v16, v[0:3] offset:32
	buffer_load_dword v0, off, s[24:27], 0 offset:288 ; 4-byte Folded Reload
	v_add_f64 v[10:11], v[10:11], v[234:235]
	s_waitcnt vmcnt(0)
	ds_write_b128 v0, v[46:49]
	ds_write_b128 v0, v[34:37] offset:16
	ds_write_b128 v0, v[50:53] offset:32
	buffer_load_dword v0, off, s[24:27], 0 offset:300 ; 4-byte Folded Reload
	s_waitcnt vmcnt(0)
	ds_write_b128 v0, v[38:41]
	ds_write_b128 v0, v[26:29] offset:16
	ds_write_b128 v0, v[42:45] offset:32
	buffer_load_dword v0, off, s[24:27], 0 offset:304 ; 4-byte Folded Reload
	;; [unrolled: 5-line block ×3, first 2 shown]
	s_waitcnt vmcnt(0)
	ds_write_b128 v0, v[240:243]
	ds_write_b128 v0, v[252:255] offset:16
	ds_write_b128 v0, v[4:7] offset:32
	s_and_saveexec_b32 s1, vcc_lo
	s_cbranch_execz .LBB0_21
; %bb.20:
	buffer_load_dword v0, off, s[24:27], 0 offset:352 ; 4-byte Folded Reload
	s_waitcnt vmcnt(0)
	v_lshlrev_b32_e32 v0, 4, v0
	ds_write_b128 v0, v[8:11]
	ds_write_b128 v0, v[236:239] offset:16
	ds_write_b128 v0, v[12:15] offset:32
.LBB0_21:
	s_or_b32 exec_lo, exec_lo, s1
	s_waitcnt lgkmcnt(0)
	s_barrier
	buffer_gl0_inv
	ds_read_b128 v[0:3], v56
	ds_read_b128 v[228:231], v56 offset:864
	ds_read_b128 v[52:55], v56 offset:2304
	;; [unrolled: 1-line block ×11, first 2 shown]
	s_and_saveexec_b32 s1, s0
	s_cbranch_execz .LBB0_23
; %bb.22:
	ds_read_b128 v[240:243], v56 offset:1728
	ds_read_b128 v[252:255], v56 offset:4032
	;; [unrolled: 1-line block ×6, first 2 shown]
.LBB0_23:
	s_or_b32 exec_lo, exec_lo, s1
	s_waitcnt lgkmcnt(9)
	v_mul_f64 v[58:59], v[94:95], v[54:55]
	s_mov_b32 s4, 0xe8584caa
	s_mov_b32 s5, 0xbfebb67a
	;; [unrolled: 1-line block ×4, first 2 shown]
	v_fma_f64 v[58:59], v[92:93], v[52:53], v[58:59]
	v_mul_f64 v[52:53], v[94:95], v[52:53]
	v_fma_f64 v[52:53], v[92:93], v[54:55], -v[52:53]
	s_clause 0x3
	buffer_load_dword v92, off, s[24:27], 0 offset:308
	buffer_load_dword v93, off, s[24:27], 0 offset:312
	;; [unrolled: 1-line block ×4, first 2 shown]
	s_waitcnt lgkmcnt(7)
	v_mul_f64 v[54:55], v[98:99], v[50:51]
	s_waitcnt vmcnt(0) lgkmcnt(0)
	s_barrier
	buffer_gl0_inv
	v_fma_f64 v[54:55], v[96:97], v[48:49], v[54:55]
	v_mul_f64 v[48:49], v[98:99], v[48:49]
	v_fma_f64 v[50:51], v[96:97], v[50:51], -v[48:49]
	v_mul_f64 v[48:49], v[94:95], v[46:47]
	v_fma_f64 v[60:61], v[92:93], v[44:45], v[48:49]
	v_mul_f64 v[44:45], v[94:95], v[44:45]
	v_fma_f64 v[62:63], v[92:93], v[46:47], -v[44:45]
	v_mul_f64 v[44:45], v[66:67], v[42:43]
	;; [unrolled: 4-line block ×3, first 2 shown]
	v_add_f64 v[46:47], v[50:51], v[64:65]
	v_fma_f64 v[66:67], v[88:89], v[36:37], v[40:41]
	v_mul_f64 v[36:37], v[90:91], v[36:37]
	v_fma_f64 v[88:89], v[88:89], v[38:39], -v[36:37]
	v_mul_f64 v[36:37], v[70:71], v[34:35]
	v_fma_f64 v[36:37], v[68:69], v[32:33], v[36:37]
	v_mul_f64 v[32:33], v[70:71], v[32:33]
	v_fma_f64 v[32:33], v[68:69], v[34:35], -v[32:33]
	v_mul_f64 v[34:35], v[78:79], v[30:31]
	v_fma_f64 v[68:69], v[46:47], -0.5, v[2:3]
	v_add_f64 v[2:3], v[2:3], v[50:51]
	v_add_f64 v[50:51], v[50:51], -v[64:65]
	v_fma_f64 v[34:35], v[76:77], v[28:29], v[34:35]
	v_mul_f64 v[28:29], v[78:79], v[28:29]
	v_add_f64 v[48:49], v[2:3], v[64:65]
	v_fma_f64 v[30:31], v[76:77], v[30:31], -v[28:29]
	v_mul_f64 v[28:29], v[74:75], v[26:27]
	v_fma_f64 v[40:41], v[72:73], v[24:25], v[28:29]
	v_mul_f64 v[24:25], v[74:75], v[24:25]
	v_fma_f64 v[42:43], v[72:73], v[26:27], -v[24:25]
	v_mul_f64 v[24:25], v[86:87], v[22:23]
	v_fma_f64 v[44:45], v[84:85], v[20:21], v[24:25]
	v_mul_f64 v[20:21], v[86:87], v[20:21]
	;; [unrolled: 4-line block ×3, first 2 shown]
	buffer_load_dword v82, off, s[24:27], 0 offset:324 ; 4-byte Folded Reload
	v_fma_f64 v[28:29], v[80:81], v[18:19], -v[16:17]
	v_mul_f64 v[18:19], v[122:123], v[252:253]
	v_mul_f64 v[16:17], v[122:123], v[254:255]
	v_fma_f64 v[20:21], v[120:121], v[254:255], -v[18:19]
	v_mul_f64 v[18:19], v[118:119], v[6:7]
	v_fma_f64 v[16:17], v[120:121], v[252:253], v[16:17]
	v_fma_f64 v[18:19], v[116:117], v[4:5], v[18:19]
	v_mul_f64 v[4:5], v[118:119], v[4:5]
	v_fma_f64 v[22:23], v[116:117], v[6:7], -v[4:5]
	v_mul_f64 v[6:7], v[130:131], v[8:9]
	v_mul_f64 v[4:5], v[130:131], v[10:11]
	v_fma_f64 v[24:25], v[128:129], v[10:11], -v[6:7]
	v_mul_f64 v[10:11], v[134:135], v[14:15]
	v_fma_f64 v[4:5], v[128:129], v[8:9], v[4:5]
	v_mul_f64 v[6:7], v[126:127], v[238:239]
	v_mul_f64 v[8:9], v[126:127], v[236:237]
	v_fma_f64 v[10:11], v[132:133], v[12:13], v[10:11]
	v_mul_f64 v[12:13], v[134:135], v[12:13]
	v_fma_f64 v[6:7], v[124:125], v[236:237], v[6:7]
	v_fma_f64 v[8:9], v[124:125], v[238:239], -v[8:9]
	v_add_f64 v[76:77], v[4:5], -v[10:11]
	v_fma_f64 v[12:13], v[132:133], v[14:15], -v[12:13]
	v_add_f64 v[14:15], v[54:55], v[92:93]
	v_fma_f64 v[14:15], v[14:15], -0.5, v[0:1]
	v_add_f64 v[0:1], v[0:1], v[54:55]
	v_add_f64 v[54:55], v[54:55], -v[92:93]
	v_add_f64 v[46:47], v[0:1], v[92:93]
	v_add_f64 v[0:1], v[58:59], v[60:61]
	;; [unrolled: 1-line block ×6, first 2 shown]
	v_add_f64 v[46:47], v[46:47], -v[70:71]
	v_add_f64 v[70:71], v[60:61], v[66:67]
	v_add_f64 v[60:61], v[60:61], -v[66:67]
	v_add_f64 v[66:67], v[62:63], v[88:89]
	;; [unrolled: 2-line block ×3, first 2 shown]
	v_add_f64 v[48:49], v[48:49], -v[72:73]
	v_fma_f64 v[58:59], v[70:71], -0.5, v[58:59]
	v_add_f64 v[70:71], v[30:31], v[38:39]
	v_fma_f64 v[52:53], v[66:67], -0.5, v[52:53]
	v_fma_f64 v[66:67], v[62:63], s[4:5], v[58:59]
	v_fma_f64 v[58:59], v[62:63], s[2:3], v[58:59]
	;; [unrolled: 1-line block ×8, first 2 shown]
	v_add_f64 v[68:69], v[34:35], v[44:45]
	s_waitcnt vmcnt(0)
	ds_write_b128 v82, v[0:3]
	ds_write_b128 v82, v[46:49] offset:144
	v_mul_f64 v[62:63], v[64:65], s[4:5]
	v_mul_f64 v[64:65], v[64:65], 0.5
	v_fma_f64 v[62:63], v[66:67], 0.5, v[62:63]
	v_fma_f64 v[64:65], v[66:67], s[2:3], v[64:65]
	v_mul_f64 v[66:67], v[52:53], s[4:5]
	v_mul_f64 v[52:53], v[52:53], -0.5
	v_add_f64 v[0:1], v[60:61], v[62:63]
	v_add_f64 v[2:3], v[50:51], v[64:65]
	v_fma_f64 v[66:67], v[58:59], -0.5, v[66:67]
	v_fma_f64 v[58:59], v[58:59], s[2:3], v[52:53]
	v_add_f64 v[48:49], v[50:51], -v[64:65]
	v_add_f64 v[64:65], v[42:43], v[28:29]
	v_add_f64 v[46:47], v[60:61], -v[62:63]
	ds_write_b128 v82, v[0:3] offset:48
	v_add_f64 v[50:51], v[14:15], v[66:67]
	v_add_f64 v[52:53], v[54:55], v[58:59]
	v_add_f64 v[62:63], v[54:55], -v[58:59]
	v_add_f64 v[54:55], v[40:41], v[26:27]
	v_fma_f64 v[64:65], v[64:65], -0.5, v[32:33]
	v_add_f64 v[32:33], v[32:33], v[42:43]
	v_add_f64 v[60:61], v[14:15], -v[66:67]
	v_add_f64 v[14:15], v[228:229], v[34:35]
	v_fma_f64 v[58:59], v[68:69], -0.5, v[228:229]
	v_fma_f64 v[66:67], v[70:71], -0.5, v[230:231]
	v_add_f64 v[68:69], v[230:231], v[30:31]
	v_add_f64 v[70:71], v[6:7], v[18:19]
	;; [unrolled: 1-line block ×3, first 2 shown]
	v_add_f64 v[30:31], v[30:31], -v[38:39]
	v_add_f64 v[34:35], v[34:35], -v[44:45]
	;; [unrolled: 1-line block ×3, first 2 shown]
	v_add_f64 v[2:3], v[4:5], v[10:11]
	ds_write_b128 v82, v[50:53] offset:96
	v_add_f64 v[50:51], v[36:37], v[40:41]
	v_add_f64 v[52:53], v[24:25], v[12:13]
	v_add_f64 v[40:41], v[40:41], -v[26:27]
	v_fma_f64 v[36:37], v[54:55], -0.5, v[36:37]
	v_add_f64 v[78:79], v[32:33], v[28:29]
	v_add_f64 v[44:45], v[14:15], v[44:45]
	v_add_f64 v[14:15], v[22:23], -v[8:9]
	v_add_f64 v[54:55], v[18:19], -v[6:7]
	v_add_f64 v[68:69], v[68:69], v[38:39]
	v_fma_f64 v[38:39], v[70:71], -0.5, v[240:241]
	v_fma_f64 v[72:73], v[0:1], -0.5, v[242:243]
	v_add_f64 v[70:71], v[24:25], -v[12:13]
	v_fma_f64 v[80:81], v[34:35], s[2:3], v[66:67]
	v_fma_f64 v[66:67], v[34:35], s[4:5], v[66:67]
	v_fma_f64 v[74:75], v[2:3], -0.5, v[16:17]
	ds_write_b128 v82, v[46:49] offset:192
	ds_write_b128 v82, v[60:63] offset:240
	v_add_f64 v[50:51], v[50:51], v[26:27]
	v_fma_f64 v[52:53], v[52:53], -0.5, v[20:21]
	v_fma_f64 v[28:29], v[40:41], s[2:3], v[64:65]
	v_fma_f64 v[32:33], v[40:41], s[4:5], v[64:65]
	;; [unrolled: 1-line block ×14, first 2 shown]
	v_mul_f64 v[52:53], v[28:29], s[4:5]
	v_mul_f64 v[28:29], v[28:29], 0.5
	v_fma_f64 v[52:53], v[30:31], 0.5, v[52:53]
	v_fma_f64 v[54:55], v[30:31], s[2:3], v[28:29]
	v_mul_f64 v[30:31], v[32:33], -0.5
	v_mul_f64 v[28:29], v[32:33], s[4:5]
	v_add_f64 v[48:49], v[64:65], -v[52:53]
	v_add_f64 v[46:47], v[80:81], v[54:55]
	v_fma_f64 v[72:73], v[34:35], s[2:3], v[30:31]
	v_mul_f64 v[30:31], v[40:41], 0.5
	v_fma_f64 v[70:71], v[34:35], -0.5, v[28:29]
	v_mul_f64 v[28:29], v[40:41], s[4:5]
	v_mul_f64 v[34:35], v[42:43], -0.5
	v_add_f64 v[40:41], v[44:45], -v[50:51]
	v_fma_f64 v[32:33], v[36:37], s[2:3], v[30:31]
	v_mul_f64 v[30:31], v[42:43], s[4:5]
	v_fma_f64 v[28:29], v[36:37], 0.5, v[28:29]
	v_fma_f64 v[34:35], v[38:39], s[2:3], v[34:35]
	v_add_f64 v[36:37], v[44:45], v[50:51]
	v_add_f64 v[42:43], v[68:69], -v[78:79]
	v_add_f64 v[44:45], v[64:65], v[52:53]
	v_add_f64 v[52:53], v[58:59], v[70:71]
	v_add_f64 v[50:51], v[80:81], -v[54:55]
	v_add_f64 v[54:55], v[66:67], v[72:73]
	v_add_f64 v[62:63], v[14:15], -v[32:33]
	v_fma_f64 v[30:31], v[38:39], -0.5, v[30:31]
	v_add_f64 v[38:39], v[68:69], v[78:79]
	v_add_f64 v[68:69], v[58:59], -v[70:71]
	buffer_load_dword v58, off, s[24:27], 0 offset:328 ; 4-byte Folded Reload
	v_add_f64 v[70:71], v[66:67], -v[72:73]
	v_add_f64 v[60:61], v[0:1], -v[28:29]
	v_add_f64 v[66:67], v[26:27], -v[34:35]
	s_waitcnt vmcnt(0)
	ds_write_b128 v58, v[36:39]
	ds_write_b128 v58, v[44:47] offset:48
	ds_write_b128 v58, v[52:55] offset:96
	;; [unrolled: 1-line block ×5, first 2 shown]
	v_add_f64 v[64:65], v[2:3], -v[30:31]
	s_and_saveexec_b32 s1, s0
	s_cbranch_execz .LBB0_25
; %bb.24:
	v_add_f64 v[18:19], v[18:19], v[240:241]
	v_add_f64 v[22:23], v[22:23], v[242:243]
	;; [unrolled: 1-line block ×7, first 2 shown]
	buffer_load_dword v1, off, s[24:27], 0 offset:280 ; 4-byte Folded Reload
	v_mov_b32_e32 v0, 18
	v_add_f64 v[16:17], v[8:9], v[22:23]
	v_add_f64 v[20:21], v[12:13], v[20:21]
	;; [unrolled: 1-line block ×5, first 2 shown]
	v_add_f64 v[12:13], v[16:17], -v[20:21]
	v_add_f64 v[16:17], v[16:17], v[20:21]
	v_add_f64 v[14:15], v[18:19], v[10:11]
	v_add_f64 v[10:11], v[18:19], -v[10:11]
	s_waitcnt vmcnt(0)
	v_mul_u32_u24_sdwa v0, v1, v0 dst_sel:DWORD dst_unused:UNUSED_PAD src0_sel:WORD_0 src1_sel:DWORD
	buffer_load_dword v1, off, s[24:27], 0 offset:284 ; 4-byte Folded Reload
	s_waitcnt vmcnt(0)
	v_add_lshl_u32 v0, v0, v1, 4
	ds_write_b128 v0, v[60:63] offset:192
	ds_write_b128 v0, v[6:9] offset:48
	;; [unrolled: 1-line block ×3, first 2 shown]
	ds_write_b128 v0, v[14:17]
	ds_write_b128 v0, v[10:13] offset:144
	ds_write_b128 v0, v[64:67] offset:240
.LBB0_25:
	s_or_b32 exec_lo, exec_lo, s1
	s_waitcnt lgkmcnt(0)
	s_barrier
	buffer_gl0_inv
	ds_read_b128 v[0:3], v56 offset:864
	ds_read_b128 v[4:7], v56
	s_mov_b32 s0, 0x667f3bcd
	s_mov_b32 s1, 0xbfe6a09e
	;; [unrolled: 1-line block ×12, first 2 shown]
	s_waitcnt lgkmcnt(1)
	v_mul_f64 v[8:9], v[114:115], v[2:3]
	v_mul_f64 v[10:11], v[114:115], v[0:1]
	v_fma_f64 v[28:29], v[112:113], v[0:1], v[8:9]
	v_fma_f64 v[30:31], v[112:113], v[2:3], -v[10:11]
	ds_read_b128 v[0:3], v56 offset:1728
	ds_read_b128 v[8:11], v56 offset:2592
	s_waitcnt lgkmcnt(1)
	v_mul_f64 v[12:13], v[110:111], v[2:3]
	v_fma_f64 v[32:33], v[108:109], v[0:1], v[12:13]
	v_mul_f64 v[0:1], v[110:111], v[0:1]
	v_fma_f64 v[34:35], v[108:109], v[2:3], -v[0:1]
	ds_read_b128 v[0:3], v56 offset:3456
	ds_read_b128 v[12:15], v56 offset:4320
	s_waitcnt lgkmcnt(1)
	v_mul_f64 v[16:17], v[106:107], v[2:3]
	v_fma_f64 v[36:37], v[104:105], v[0:1], v[16:17]
	v_mul_f64 v[0:1], v[106:107], v[0:1]
	v_fma_f64 v[38:39], v[104:105], v[2:3], -v[0:1]
	s_waitcnt lgkmcnt(0)
	v_mul_f64 v[0:1], v[142:143], v[14:15]
	v_fma_f64 v[40:41], v[140:141], v[12:13], v[0:1]
	v_mul_f64 v[0:1], v[142:143], v[12:13]
	v_fma_f64 v[42:43], v[140:141], v[14:15], -v[0:1]
	ds_read_b128 v[0:3], v56 offset:5184
	ds_read_b128 v[12:15], v56 offset:6048
	s_waitcnt lgkmcnt(1)
	v_mul_f64 v[16:17], v[146:147], v[2:3]
	v_fma_f64 v[44:45], v[144:145], v[0:1], v[16:17]
	v_mul_f64 v[0:1], v[146:147], v[0:1]
	v_fma_f64 v[46:47], v[144:145], v[2:3], -v[0:1]
	ds_read_b128 v[0:3], v56 offset:6912
	ds_read_b128 v[16:19], v56 offset:7776
	;; [unrolled: 7-line block ×3, first 2 shown]
	s_waitcnt lgkmcnt(1)
	v_mul_f64 v[24:25], v[174:175], v[2:3]
	v_add_f64 v[50:51], v[6:7], -v[50:51]
	v_fma_f64 v[52:53], v[172:173], v[0:1], v[24:25]
	v_mul_f64 v[0:1], v[174:175], v[0:1]
	v_fma_f64 v[6:7], v[6:7], 2.0, -v[50:51]
	v_fma_f64 v[54:55], v[172:173], v[2:3], -v[0:1]
	ds_read_b128 v[0:3], v56 offset:12096
	ds_read_b128 v[24:27], v56 offset:12960
	s_waitcnt lgkmcnt(1)
	v_mul_f64 v[58:59], v[178:179], v[2:3]
	v_add_f64 v[54:55], v[38:39], -v[54:55]
	v_fma_f64 v[58:59], v[176:177], v[0:1], v[58:59]
	v_mul_f64 v[0:1], v[178:179], v[0:1]
	v_fma_f64 v[38:39], v[38:39], 2.0, -v[54:55]
	v_add_f64 v[58:59], v[44:45], -v[58:59]
	v_fma_f64 v[68:69], v[176:177], v[2:3], -v[0:1]
	v_mul_f64 v[0:1], v[162:163], v[18:19]
	v_add_f64 v[38:39], v[6:7], -v[38:39]
	v_fma_f64 v[44:45], v[44:45], 2.0, -v[58:59]
	v_fma_f64 v[70:71], v[160:161], v[16:17], v[0:1]
	v_mul_f64 v[0:1], v[162:163], v[16:17]
	v_fma_f64 v[16:17], v[160:161], v[18:19], -v[0:1]
	v_mul_f64 v[0:1], v[170:171], v[22:23]
	v_add_f64 v[16:17], v[30:31], -v[16:17]
	v_fma_f64 v[18:19], v[168:169], v[20:21], v[0:1]
	v_mul_f64 v[0:1], v[170:171], v[20:21]
	v_fma_f64 v[30:31], v[30:31], 2.0, -v[16:17]
	v_add_f64 v[18:19], v[40:41], -v[18:19]
	v_fma_f64 v[20:21], v[168:169], v[22:23], -v[0:1]
	v_mul_f64 v[0:1], v[102:103], v[10:11]
	v_fma_f64 v[40:41], v[40:41], 2.0, -v[18:19]
	v_add_f64 v[20:21], v[42:43], -v[20:21]
	v_fma_f64 v[22:23], v[100:101], v[8:9], v[0:1]
	v_mul_f64 v[0:1], v[102:103], v[8:9]
	v_add_f64 v[18:19], v[16:17], -v[18:19]
	v_fma_f64 v[42:43], v[42:43], 2.0, -v[20:21]
	v_fma_f64 v[8:9], v[100:101], v[10:11], -v[0:1]
	ds_read_b128 v[0:3], v56 offset:9504
	v_fma_f64 v[16:17], v[16:17], 2.0, -v[18:19]
	v_add_f64 v[42:43], v[30:31], -v[42:43]
	s_waitcnt lgkmcnt(0)
	v_mul_f64 v[10:11], v[158:159], v[2:3]
	v_fma_f64 v[30:31], v[30:31], 2.0, -v[42:43]
	v_fma_f64 v[10:11], v[156:157], v[0:1], v[10:11]
	v_mul_f64 v[0:1], v[158:159], v[0:1]
	v_add_f64 v[10:11], v[22:23], -v[10:11]
	v_fma_f64 v[72:73], v[156:157], v[2:3], -v[0:1]
	v_mul_f64 v[0:1], v[138:139], v[14:15]
	v_mul_f64 v[2:3], v[166:167], v[26:27]
	v_fma_f64 v[22:23], v[22:23], 2.0, -v[10:11]
	v_fma_f64 v[74:75], v[136:137], v[12:13], v[0:1]
	v_mul_f64 v[0:1], v[138:139], v[12:13]
	v_fma_f64 v[12:13], v[136:137], v[14:15], -v[0:1]
	v_mul_f64 v[0:1], v[166:167], v[24:25]
	v_fma_f64 v[24:25], v[164:165], v[24:25], v[2:3]
	v_fma_f64 v[14:15], v[164:165], v[26:27], -v[0:1]
	ds_read_b128 v[0:3], v56 offset:8640
	v_add_f64 v[24:25], v[74:75], -v[24:25]
	s_waitcnt lgkmcnt(0)
	s_barrier
	buffer_gl0_inv
	v_mul_f64 v[26:27], v[154:155], v[0:1]
	v_mul_f64 v[76:77], v[154:155], v[2:3]
	v_add_f64 v[14:15], v[12:13], -v[14:15]
	v_fma_f64 v[2:3], v[152:153], v[2:3], -v[26:27]
	v_fma_f64 v[0:1], v[152:153], v[0:1], v[76:77]
	v_add_f64 v[26:27], v[4:5], -v[48:49]
	v_add_f64 v[48:49], v[36:37], -v[52:53]
	;; [unrolled: 1-line block ×5, first 2 shown]
	v_fma_f64 v[12:13], v[12:13], 2.0, -v[14:15]
	v_add_f64 v[14:15], v[10:11], v[14:15]
	v_add_f64 v[2:3], v[34:35], -v[2:3]
	v_add_f64 v[0:1], v[32:33], -v[0:1]
	v_fma_f64 v[4:5], v[4:5], 2.0, -v[26:27]
	v_fma_f64 v[36:37], v[36:37], 2.0, -v[48:49]
	;; [unrolled: 1-line block ×3, first 2 shown]
	v_add_f64 v[48:49], v[50:51], -v[48:49]
	v_add_f64 v[72:73], v[70:71], -v[24:25]
	v_fma_f64 v[24:25], v[74:75], 2.0, -v[24:25]
	v_add_f64 v[20:21], v[68:69], v[20:21]
	v_add_f64 v[74:75], v[26:27], v[54:55]
	v_fma_f64 v[28:29], v[28:29], 2.0, -v[68:69]
	v_fma_f64 v[8:9], v[8:9], 2.0, -v[70:71]
	;; [unrolled: 1-line block ×4, first 2 shown]
	v_add_f64 v[76:77], v[2:3], -v[58:59]
	v_add_f64 v[52:53], v[0:1], v[52:53]
	v_fma_f64 v[32:33], v[32:33], 2.0, -v[0:1]
	v_add_f64 v[36:37], v[4:5], -v[36:37]
	v_fma_f64 v[50:51], v[50:51], 2.0, -v[48:49]
	v_fma_f64 v[54:55], v[72:73], s[2:3], v[18:19]
	v_add_f64 v[24:25], v[22:23], -v[24:25]
	v_fma_f64 v[78:79], v[14:15], s[2:3], v[20:21]
	v_fma_f64 v[68:69], v[68:69], 2.0, -v[20:21]
	v_add_f64 v[40:41], v[28:29], -v[40:41]
	v_add_f64 v[12:13], v[8:9], -v[12:13]
	v_fma_f64 v[70:71], v[70:71], 2.0, -v[72:73]
	v_fma_f64 v[26:27], v[26:27], 2.0, -v[74:75]
	v_add_f64 v[46:47], v[34:35], -v[46:47]
	v_fma_f64 v[58:59], v[76:77], s[2:3], v[48:49]
	v_fma_f64 v[80:81], v[52:53], s[2:3], v[74:75]
	v_add_f64 v[44:45], v[32:33], -v[44:45]
	v_fma_f64 v[0:1], v[0:1], 2.0, -v[52:53]
	v_fma_f64 v[2:3], v[2:3], 2.0, -v[76:77]
	v_fma_f64 v[14:15], v[14:15], s[0:1], v[54:55]
	v_fma_f64 v[84:85], v[4:5], 2.0, -v[36:37]
	v_fma_f64 v[78:79], v[72:73], s[2:3], v[78:79]
	v_fma_f64 v[72:73], v[10:11], s[0:1], v[68:69]
	v_fma_f64 v[28:29], v[28:29], 2.0, -v[40:41]
	v_add_f64 v[54:55], v[40:41], v[12:13]
	v_fma_f64 v[4:5], v[70:71], s[0:1], v[16:17]
	v_fma_f64 v[22:23], v[22:23], 2.0, -v[24:25]
	v_fma_f64 v[8:9], v[8:9], 2.0, -v[12:13]
	v_add_f64 v[82:83], v[36:37], v[46:47]
	v_fma_f64 v[58:59], v[52:53], s[0:1], v[58:59]
	v_add_f64 v[52:53], v[42:43], -v[24:25]
	v_fma_f64 v[80:81], v[76:77], s[2:3], v[80:81]
	v_add_f64 v[76:77], v[38:39], -v[44:45]
	v_fma_f64 v[34:35], v[34:35], 2.0, -v[46:47]
	v_fma_f64 v[32:33], v[32:33], 2.0, -v[44:45]
	;; [unrolled: 1-line block ×5, first 2 shown]
	v_fma_f64 v[40:41], v[0:1], s[0:1], v[26:27]
	v_add_f64 v[22:23], v[28:29], -v[22:23]
	v_fma_f64 v[86:87], v[36:37], 2.0, -v[82:83]
	v_fma_f64 v[36:37], v[70:71], s[2:3], v[72:73]
	v_fma_f64 v[46:47], v[42:43], 2.0, -v[52:53]
	v_fma_f64 v[70:71], v[6:7], 2.0, -v[38:39]
	;; [unrolled: 1-line block ×3, first 2 shown]
	v_fma_f64 v[6:7], v[2:3], s[0:1], v[50:51]
	v_fma_f64 v[24:25], v[54:55], s[2:3], v[82:83]
	;; [unrolled: 1-line block ×3, first 2 shown]
	v_fma_f64 v[90:91], v[48:49], 2.0, -v[58:59]
	v_fma_f64 v[12:13], v[52:53], s[2:3], v[76:77]
	v_fma_f64 v[74:75], v[74:75], 2.0, -v[80:81]
	v_add_f64 v[32:33], v[84:85], -v[32:33]
	v_fma_f64 v[88:89], v[2:3], s[2:3], v[40:41]
	v_fma_f64 v[40:41], v[78:79], s[14:15], v[80:81]
	;; [unrolled: 1-line block ×3, first 2 shown]
	v_fma_f64 v[42:43], v[68:69], 2.0, -v[36:37]
	v_add_f64 v[34:35], v[70:71], -v[34:35]
	v_fma_f64 v[10:11], v[46:47], s[0:1], v[72:73]
	v_fma_f64 v[92:93], v[0:1], s[0:1], v[6:7]
	;; [unrolled: 1-line block ×3, first 2 shown]
	v_add_f64 v[24:25], v[30:31], -v[8:9]
	v_fma_f64 v[2:3], v[54:55], s[0:1], v[12:13]
	v_fma_f64 v[12:13], v[14:15], s[14:15], v[58:59]
	;; [unrolled: 1-line block ×3, first 2 shown]
	v_fma_f64 v[94:95], v[26:27], 2.0, -v[88:89]
	v_fma_f64 v[68:69], v[14:15], s[12:13], v[40:41]
	v_fma_f64 v[4:5], v[46:47], s[2:3], v[4:5]
	v_fma_f64 v[46:47], v[84:85], 2.0, -v[32:33]
	v_fma_f64 v[48:49], v[70:71], 2.0, -v[34:35]
	v_fma_f64 v[6:7], v[44:45], s[0:1], v[10:11]
	v_fma_f64 v[10:11], v[18:19], s[16:17], v[90:91]
	v_fma_f64 v[44:45], v[16:17], 2.0, -v[38:39]
	v_fma_f64 v[96:97], v[50:51], 2.0, -v[92:93]
	;; [unrolled: 1-line block ×4, first 2 shown]
	v_fma_f64 v[28:29], v[38:39], s[12:13], v[92:93]
	v_fma_f64 v[70:71], v[78:79], s[16:17], v[12:13]
	;; [unrolled: 1-line block ×3, first 2 shown]
	v_add_f64 v[12:13], v[32:33], v[24:25]
	v_add_f64 v[14:15], v[34:35], -v[22:23]
	v_fma_f64 v[8:9], v[18:19], s[14:15], v[8:9]
	v_fma_f64 v[10:11], v[20:21], s[4:5], v[10:11]
	;; [unrolled: 1-line block ×4, first 2 shown]
	v_add_f64 v[16:17], v[46:47], -v[16:17]
	v_add_f64 v[18:19], v[48:49], -v[26:27]
	v_fma_f64 v[22:23], v[36:37], s[4:5], v[28:29]
	v_fma_f64 v[36:37], v[80:81], 2.0, -v[68:69]
	v_fma_f64 v[24:25], v[44:45], s[12:13], v[30:31]
	v_fma_f64 v[28:29], v[32:33], 2.0, -v[12:13]
	v_fma_f64 v[30:31], v[34:35], 2.0, -v[14:15]
	;; [unrolled: 1-line block ×6, first 2 shown]
	v_fma_f64 v[20:21], v[38:39], s[14:15], v[20:21]
	v_fma_f64 v[26:27], v[42:43], s[16:17], v[40:41]
	v_fma_f64 v[38:39], v[58:59], 2.0, -v[70:71]
	v_fma_f64 v[40:41], v[46:47], 2.0, -v[16:17]
	;; [unrolled: 1-line block ×9, first 2 shown]
	ds_write_b128 v57, v[12:15] offset:3456
	ds_write_b128 v57, v[0:3] offset:4032
	ds_write_b128 v57, v[68:71] offset:4320
	ds_write_b128 v57, v[28:31] offset:1152
	ds_write_b128 v57, v[32:35] offset:1728
	ds_write_b128 v57, v[36:39] offset:2016
	ds_write_b128 v57, v[16:19] offset:2304
	ds_write_b128 v57, v[4:7] offset:2880
	ds_write_b128 v57, v[8:11] offset:3168
	ds_write_b128 v57, v[20:23] offset:3744
	ds_write_b128 v57, v[40:43]
	ds_write_b128 v57, v[44:47] offset:576
	ds_write_b128 v57, v[48:51] offset:864
	;; [unrolled: 1-line block ×5, first 2 shown]
	s_waitcnt lgkmcnt(0)
	s_barrier
	buffer_gl0_inv
	ds_read_b128 v[16:19], v56
	ds_read_b128 v[8:11], v56 offset:864
	ds_read_b128 v[52:55], v56 offset:9216
	;; [unrolled: 1-line block ×14, first 2 shown]
	s_and_saveexec_b32 s0, vcc_lo
	s_cbranch_execz .LBB0_27
; %bb.26:
	ds_read_b128 v[68:71], v56 offset:4320
	ds_read_b128 v[60:63], v56 offset:8928
	;; [unrolled: 1-line block ×3, first 2 shown]
.LBB0_27:
	s_or_b32 exec_lo, exec_lo, s0
	s_waitcnt lgkmcnt(4)
	v_mul_f64 v[57:58], v[182:183], v[74:75]
	v_mul_f64 v[76:77], v[186:187], v[54:55]
	;; [unrolled: 1-line block ×12, first 2 shown]
	s_waitcnt lgkmcnt(2)
	v_mul_f64 v[98:99], v[218:219], v[42:43]
	v_mul_f64 v[100:101], v[218:219], v[40:41]
	;; [unrolled: 1-line block ×4, first 2 shown]
	s_waitcnt lgkmcnt(1)
	v_mul_f64 v[106:107], v[222:223], v[22:23]
	s_waitcnt lgkmcnt(0)
	v_mul_f64 v[108:109], v[226:227], v[26:27]
	s_mov_b32 s0, 0xe8584caa
	s_mov_b32 s1, 0xbfebb67a
	s_mov_b32 s3, 0x3febb67a
	s_mov_b32 s2, s0
	v_fma_f64 v[57:58], v[180:181], v[72:73], v[57:58]
	v_fma_f64 v[52:53], v[184:185], v[52:53], v[76:77]
	v_fma_f64 v[72:73], v[180:181], v[74:75], -v[78:79]
	v_fma_f64 v[54:55], v[184:185], v[54:55], -v[80:81]
	v_mul_f64 v[74:75], v[222:223], v[20:21]
	v_mul_f64 v[76:77], v[226:227], v[24:25]
	v_fma_f64 v[48:49], v[196:197], v[48:49], v[82:83]
	v_fma_f64 v[44:45], v[200:201], v[44:45], v[84:85]
	v_fma_f64 v[50:51], v[196:197], v[50:51], -v[86:87]
	v_fma_f64 v[46:47], v[200:201], v[46:47], -v[88:89]
	v_fma_f64 v[28:29], v[204:205], v[28:29], v[90:91]
	v_fma_f64 v[36:37], v[208:209], v[36:37], v[92:93]
	v_fma_f64 v[30:31], v[204:205], v[30:31], -v[94:95]
	v_fma_f64 v[38:39], v[208:209], v[38:39], -v[96:97]
	v_fma_f64 v[40:41], v[216:217], v[40:41], v[98:99]
	v_fma_f64 v[42:43], v[216:217], v[42:43], -v[100:101]
	v_fma_f64 v[78:79], v[212:213], v[32:33], v[102:103]
	;; [unrolled: 2-line block ×3, first 2 shown]
	v_fma_f64 v[82:83], v[224:225], v[24:25], v[108:109]
	v_add_f64 v[24:25], v[57:58], v[52:53]
	v_add_f64 v[32:33], v[72:73], v[54:55]
	v_fma_f64 v[22:23], v[220:221], v[22:23], -v[74:75]
	v_fma_f64 v[74:75], v[224:225], v[26:27], -v[76:77]
	v_add_f64 v[26:27], v[16:17], v[57:58]
	v_add_f64 v[34:35], v[48:49], v[44:45]
	v_add_f64 v[76:77], v[72:73], -v[54:55]
	v_add_f64 v[84:85], v[50:51], v[46:47]
	v_add_f64 v[72:73], v[18:19], v[72:73]
	;; [unrolled: 1-line block ×3, first 2 shown]
	v_add_f64 v[57:58], v[57:58], -v[52:53]
	v_add_f64 v[92:93], v[30:31], v[38:39]
	v_add_f64 v[86:87], v[8:9], v[48:49]
	v_add_f64 v[90:91], v[50:51], -v[46:47]
	v_add_f64 v[96:97], v[40:41], v[78:79]
	v_add_f64 v[100:101], v[42:43], v[80:81]
	;; [unrolled: 1-line block ×4, first 2 shown]
	v_add_f64 v[48:49], v[48:49], -v[44:45]
	v_add_f64 v[94:95], v[12:13], v[28:29]
	v_add_f64 v[104:105], v[28:29], -v[36:37]
	v_fma_f64 v[16:17], v[24:25], -0.5, v[16:17]
	v_add_f64 v[98:99], v[30:31], -v[38:39]
	v_fma_f64 v[18:19], v[32:33], -0.5, v[18:19]
	v_add_f64 v[30:31], v[14:15], v[30:31]
	v_add_f64 v[24:25], v[22:23], v[74:75]
	;; [unrolled: 1-line block ×3, first 2 shown]
	v_fma_f64 v[28:29], v[34:35], -0.5, v[8:9]
	v_add_f64 v[108:109], v[42:43], -v[80:81]
	v_fma_f64 v[32:33], v[84:85], -0.5, v[10:11]
	v_add_f64 v[84:85], v[40:41], -v[78:79]
	v_fma_f64 v[34:35], v[88:89], -0.5, v[12:13]
	v_add_f64 v[42:43], v[6:7], v[42:43]
	v_fma_f64 v[40:41], v[92:93], -0.5, v[14:15]
	v_add_f64 v[8:9], v[26:27], v[52:53]
	v_add_f64 v[10:11], v[72:73], v[54:55]
	v_fma_f64 v[52:53], v[96:97], -0.5, v[4:5]
	v_fma_f64 v[54:55], v[100:101], -0.5, v[6:7]
	v_add_f64 v[110:111], v[0:1], v[20:21]
	v_add_f64 v[112:113], v[2:3], v[22:23]
	v_add_f64 v[88:89], v[22:23], -v[74:75]
	v_fma_f64 v[72:73], v[102:103], -0.5, v[0:1]
	v_add_f64 v[4:5], v[86:87], v[44:45]
	v_fma_f64 v[12:13], v[76:77], s[0:1], v[16:17]
	v_fma_f64 v[16:17], v[76:77], s[2:3], v[16:17]
	;; [unrolled: 1-line block ×4, first 2 shown]
	v_fma_f64 v[57:58], v[24:25], -0.5, v[2:3]
	v_add_f64 v[76:77], v[20:21], -v[82:83]
	v_add_f64 v[6:7], v[50:51], v[46:47]
	v_fma_f64 v[0:1], v[90:91], s[0:1], v[28:29]
	v_fma_f64 v[2:3], v[48:49], s[2:3], v[32:33]
	v_fma_f64 v[20:21], v[90:91], s[2:3], v[28:29]
	v_fma_f64 v[22:23], v[48:49], s[0:1], v[32:33]
	v_add_f64 v[24:25], v[94:95], v[36:37]
	v_add_f64 v[26:27], v[30:31], v[38:39]
	v_fma_f64 v[28:29], v[98:99], s[0:1], v[34:35]
	v_fma_f64 v[30:31], v[104:105], s[2:3], v[40:41]
	v_fma_f64 v[32:33], v[98:99], s[2:3], v[34:35]
	v_fma_f64 v[34:35], v[104:105], s[0:1], v[40:41]
	v_add_f64 v[36:37], v[106:107], v[78:79]
	;; [unrolled: 6-line block ×3, first 2 shown]
	v_add_f64 v[50:51], v[112:113], v[74:75]
	v_fma_f64 v[52:53], v[88:89], s[0:1], v[72:73]
	v_fma_f64 v[72:73], v[88:89], s[2:3], v[72:73]
	;; [unrolled: 1-line block ×4, first 2 shown]
	ds_write_b128 v56, v[8:11]
	ds_write_b128 v56, v[12:15] offset:4608
	ds_write_b128 v56, v[16:19] offset:9216
	;; [unrolled: 1-line block ×14, first 2 shown]
	s_and_saveexec_b32 s4, vcc_lo
	s_cbranch_execz .LBB0_29
; %bb.28:
	s_clause 0x7
	buffer_load_dword v8, off, s[24:27], 0 offset:336
	buffer_load_dword v9, off, s[24:27], 0 offset:340
	;; [unrolled: 1-line block ×8, first 2 shown]
	s_waitcnt vmcnt(4)
	v_mul_f64 v[0:1], v[10:11], v[60:61]
	s_waitcnt vmcnt(0)
	v_mul_f64 v[2:3], v[14:15], v[64:65]
	v_mul_f64 v[4:5], v[10:11], v[62:63]
	;; [unrolled: 1-line block ×3, first 2 shown]
	v_fma_f64 v[0:1], v[8:9], v[62:63], -v[0:1]
	v_fma_f64 v[2:3], v[12:13], v[66:67], -v[2:3]
	v_fma_f64 v[4:5], v[8:9], v[60:61], v[4:5]
	v_fma_f64 v[6:7], v[12:13], v[64:65], v[6:7]
	v_add_f64 v[14:15], v[70:71], v[0:1]
	v_add_f64 v[8:9], v[0:1], v[2:3]
	v_add_f64 v[16:17], v[0:1], -v[2:3]
	v_add_f64 v[10:11], v[4:5], v[6:7]
	v_add_f64 v[12:13], v[4:5], -v[6:7]
	v_add_f64 v[4:5], v[68:69], v[4:5]
	v_add_f64 v[2:3], v[14:15], v[2:3]
	v_fma_f64 v[8:9], v[8:9], -0.5, v[70:71]
	v_fma_f64 v[18:19], v[10:11], -0.5, v[68:69]
	v_add_f64 v[0:1], v[4:5], v[6:7]
	v_fma_f64 v[6:7], v[12:13], s[0:1], v[8:9]
	v_fma_f64 v[10:11], v[12:13], s[2:3], v[8:9]
	;; [unrolled: 1-line block ×4, first 2 shown]
	ds_write_b128 v56, v[0:3] offset:4320
	ds_write_b128 v56, v[8:11] offset:8928
	;; [unrolled: 1-line block ×3, first 2 shown]
.LBB0_29:
	s_or_b32 exec_lo, exec_lo, s4
	s_waitcnt lgkmcnt(0)
	s_barrier
	buffer_gl0_inv
	ds_read_b128 v[0:3], v56
	s_clause 0x1
	buffer_load_dword v4, off, s[24:27], 0 offset:4
	buffer_load_dword v5, off, s[24:27], 0 offset:8
	v_mad_u64_u32 v[38:39], null, s8, v192, 0
	s_mov_b32 s2, 0xbda12f68
	s_mov_b32 s3, 0x3f52f684
	s_mul_i32 s1, s9, 0x120
	s_mul_hi_u32 s4, s8, 0x120
	s_mul_i32 s0, s8, 0x120
	s_add_i32 s1, s4, s1
	s_lshl_b64 s[4:5], s[0:1], 4
	s_waitcnt vmcnt(1)
	v_mov_b32_e32 v33, v4
	s_waitcnt vmcnt(0)
	ds_read_b128 v[4:7], v56 offset:4608
	ds_read_b128 v[8:11], v56 offset:864
	;; [unrolled: 1-line block ×3, first 2 shown]
	s_clause 0x4
	buffer_load_dword v61, off, s[24:27], 0 offset:32
	buffer_load_dword v62, off, s[24:27], 0 offset:36
	;; [unrolled: 1-line block ×5, first 2 shown]
	v_mad_u64_u32 v[36:37], null, s10, v33, 0
	ds_read_b128 v[16:19], v56 offset:10080
	ds_read_b128 v[20:23], v56 offset:5472
	;; [unrolled: 1-line block ×4, first 2 shown]
	v_mov_b32_e32 v32, v37
	v_mov_b32_e32 v37, v39
	s_waitcnt vmcnt(1) lgkmcnt(7)
	v_mul_f64 v[40:41], v[63:64], v[2:3]
	s_waitcnt vmcnt(0)
	v_mad_u64_u32 v[44:45], null, s8, v55, 0
	v_mul_f64 v[42:43], v[63:64], v[0:1]
	v_mov_b32_e32 v39, v45
	v_mad_u64_u32 v[45:46], null, s11, v33, v[32:33]
	ds_read_b128 v[32:35], v56 offset:1728
	s_clause 0xf
	buffer_load_dword v90, off, s[24:27], 0 offset:168
	buffer_load_dword v91, off, s[24:27], 0 offset:172
	;; [unrolled: 1-line block ×16, first 2 shown]
	v_mad_u64_u32 v[46:47], null, s9, v192, v[37:38]
	v_mov_b32_e32 v37, v45
	v_fma_f64 v[40:41], v[61:62], v[0:1], v[40:41]
	v_lshlrev_b64 v[36:37], 4, v[36:37]
	v_fma_f64 v[42:43], v[61:62], v[2:3], -v[42:43]
	ds_read_b128 v[0:3], v56 offset:2592
	v_mad_u64_u32 v[65:66], null, s9, v55, v[39:40]
	v_mov_b32_e32 v39, v46
	v_lshlrev_b64 v[38:39], 4, v[38:39]
	v_mov_b32_e32 v45, v65
	s_waitcnt vmcnt(12) lgkmcnt(8)
	v_mul_f64 v[47:48], v[92:93], v[6:7]
	s_waitcnt vmcnt(8) lgkmcnt(6)
	v_mul_f64 v[51:52], v[82:83], v[14:15]
	v_mul_f64 v[53:54], v[82:83], v[12:13]
	s_clause 0x3
	buffer_load_dword v82, off, s[24:27], 0 offset:120
	buffer_load_dword v83, off, s[24:27], 0 offset:124
	;; [unrolled: 1-line block ×4, first 2 shown]
	s_waitcnt vmcnt(8)
	v_mul_f64 v[57:58], v[76:77], v[10:11]
	v_mul_f64 v[59:60], v[76:77], v[8:9]
	s_clause 0x3
	buffer_load_dword v76, off, s[24:27], 0 offset:64
	buffer_load_dword v77, off, s[24:27], 0 offset:68
	;; [unrolled: 1-line block ×4, first 2 shown]
	v_mul_f64 v[49:50], v[92:93], v[4:5]
	s_waitcnt vmcnt(8) lgkmcnt(4)
	v_mul_f64 v[61:62], v[88:89], v[22:23]
	v_mul_f64 v[63:64], v[88:89], v[20:21]
	v_fma_f64 v[46:47], v[90:91], v[4:5], v[47:48]
	v_fma_f64 v[12:13], v[80:81], v[12:13], v[51:52]
	v_fma_f64 v[14:15], v[80:81], v[14:15], -v[53:54]
	v_mul_f64 v[4:5], v[40:41], s[2:3]
	v_add_co_u32 v54, s0, s6, v36
	v_fma_f64 v[52:53], v[74:75], v[10:11], -v[59:60]
	v_fma_f64 v[48:49], v[90:91], v[6:7], -v[49:50]
	v_fma_f64 v[50:51], v[74:75], v[8:9], v[57:58]
	v_mul_f64 v[6:7], v[42:43], s[2:3]
	v_fma_f64 v[40:41], v[86:87], v[20:21], v[61:62]
	v_fma_f64 v[42:43], v[86:87], v[22:23], -v[63:64]
	v_add_co_ci_u32_e64 v55, s0, s7, v37, s0
	v_add_co_u32 v22, s0, v54, v38
	v_lshlrev_b64 v[36:37], 4, v[44:45]
	v_add_co_ci_u32_e64 v23, s0, v55, v39, s0
	v_add_co_u32 v38, s0, v22, s4
	v_mul_f64 v[8:9], v[46:47], s[2:3]
	v_mul_f64 v[12:13], v[12:13], s[2:3]
	;; [unrolled: 1-line block ×3, first 2 shown]
	v_add_co_ci_u32_e64 v39, s0, s5, v23, s0
	s_mul_i32 s0, s9, 0xfffff160
	v_mul_f64 v[10:11], v[48:49], s[2:3]
	v_mul_f64 v[20:21], v[50:51], s[2:3]
	global_store_dwordx4 v[22:23], v[4:7], off
	v_mul_f64 v[22:23], v[52:53], s[2:3]
	v_mul_f64 v[4:5], v[40:41], s[2:3]
	;; [unrolled: 1-line block ×3, first 2 shown]
	v_mad_u64_u32 v[40:41], null, 0xfffff160, s8, v[38:39]
	s_sub_i32 s1, s0, s8
	v_add_co_u32 v36, s0, v54, v36
	v_add_co_ci_u32_e64 v37, s0, v55, v37, s0
	v_add_nc_u32_e32 v41, s1, v41
	v_add_co_u32 v46, s0, v40, s4
	s_mul_i32 s1, s9, 0xfffffdf6
	v_add_co_ci_u32_e64 v47, s0, s5, v41, s0
	s_waitcnt vmcnt(4)
	v_mul_f64 v[66:67], v[84:85], v[18:19]
	v_mul_f64 v[68:69], v[84:85], v[16:17]
	s_waitcnt vmcnt(0) lgkmcnt(1)
	v_mul_f64 v[70:71], v[78:79], v[34:35]
	v_mul_f64 v[72:73], v[78:79], v[32:33]
	v_fma_f64 v[42:43], v[82:83], v[16:17], v[66:67]
	v_fma_f64 v[44:45], v[82:83], v[18:19], -v[68:69]
	ds_read_b128 v[16:19], v56 offset:10944
	global_store_dwordx4 v[38:39], v[8:11], off
	global_store_dwordx4 v[36:37], v[12:15], off
	;; [unrolled: 1-line block ×4, first 2 shown]
	v_fma_f64 v[32:33], v[76:77], v[32:33], v[70:71]
	v_fma_f64 v[34:35], v[76:77], v[34:35], -v[72:73]
	s_clause 0x3
	buffer_load_dword v50, off, s[24:27], 0 offset:216
	buffer_load_dword v51, off, s[24:27], 0 offset:220
	;; [unrolled: 1-line block ×4, first 2 shown]
	ds_read_b128 v[8:11], v56 offset:11808
	s_clause 0x3
	buffer_load_dword v57, off, s[24:27], 0 offset:200
	buffer_load_dword v58, off, s[24:27], 0 offset:204
	buffer_load_dword v59, off, s[24:27], 0 offset:208
	buffer_load_dword v60, off, s[24:27], 0 offset:212
	ds_read_b128 v[12:15], v56 offset:7200
	ds_read_b128 v[36:39], v56 offset:12672
	v_mul_f64 v[4:5], v[42:43], s[2:3]
	v_add_co_u32 v42, s0, v46, s4
	v_mul_f64 v[6:7], v[44:45], s[2:3]
	v_mul_f64 v[20:21], v[32:33], s[2:3]
	;; [unrolled: 1-line block ×3, first 2 shown]
	ds_read_b128 v[32:35], v56 offset:8064
	s_clause 0x7
	buffer_load_dword v69, off, s[24:27], 0 offset:80
	buffer_load_dword v70, off, s[24:27], 0 offset:84
	;; [unrolled: 1-line block ×8, first 2 shown]
	v_add_co_ci_u32_e64 v43, s0, s5, v47, s0
	s_mul_hi_u32 s0, s8, 0xfffffdf6
	s_sub_i32 s0, s0, s8
	s_add_i32 s1, s0, s1
	s_mul_i32 s0, s8, 0xfffffdf6
	s_lshl_b64 s[6:7], s[0:1], 4
	s_waitcnt vmcnt(12)
	v_mul_f64 v[40:41], v[52:53], v[26:27]
	v_mul_f64 v[48:49], v[52:53], v[24:25]
	s_waitcnt vmcnt(8) lgkmcnt(4)
	v_mul_f64 v[44:45], v[59:60], v[18:19]
	v_mul_f64 v[46:47], v[59:60], v[16:17]
	v_fma_f64 v[24:25], v[50:51], v[24:25], v[40:41]
	v_fma_f64 v[26:27], v[50:51], v[26:27], -v[48:49]
	s_waitcnt vmcnt(4)
	v_mul_f64 v[40:41], v[71:72], v[2:3]
	v_mul_f64 v[48:49], v[71:72], v[0:1]
	s_waitcnt vmcnt(0) lgkmcnt(2)
	v_mul_f64 v[52:53], v[77:78], v[14:15]
	v_mul_f64 v[54:55], v[77:78], v[12:13]
	s_clause 0x7
	buffer_load_dword v71, off, s[24:27], 0 offset:152
	buffer_load_dword v72, off, s[24:27], 0 offset:156
	buffer_load_dword v73, off, s[24:27], 0 offset:160
	buffer_load_dword v74, off, s[24:27], 0 offset:164
	buffer_load_dword v77, off, s[24:27], 0 offset:232
	buffer_load_dword v78, off, s[24:27], 0 offset:236
	buffer_load_dword v79, off, s[24:27], 0 offset:240
	buffer_load_dword v80, off, s[24:27], 0 offset:244
	v_fma_f64 v[16:17], v[57:58], v[16:17], v[44:45]
	v_fma_f64 v[18:19], v[57:58], v[18:19], -v[46:47]
	v_add_co_u32 v50, s0, v42, s6
	v_add_co_ci_u32_e64 v51, s0, s7, v43, s0
	v_fma_f64 v[12:13], v[75:76], v[12:13], v[52:53]
	v_fma_f64 v[14:15], v[75:76], v[14:15], -v[54:55]
	v_mul_f64 v[12:13], v[12:13], s[2:3]
	v_mul_f64 v[14:15], v[14:15], s[2:3]
	s_waitcnt vmcnt(4)
	v_mul_f64 v[44:45], v[73:74], v[10:11]
	s_waitcnt vmcnt(0)
	v_mul_f64 v[57:58], v[79:80], v[30:31]
	v_mul_f64 v[59:60], v[79:80], v[28:29]
	s_clause 0x3
	buffer_load_dword v79, off, s[24:27], 0 offset:248
	buffer_load_dword v80, off, s[24:27], 0 offset:252
	;; [unrolled: 1-line block ×4, first 2 shown]
	v_mul_f64 v[46:47], v[73:74], v[8:9]
	s_waitcnt vmcnt(0) lgkmcnt(0)
	v_mul_f64 v[61:62], v[81:82], v[34:35]
	v_mul_f64 v[63:64], v[81:82], v[32:33]
	s_clause 0x3
	buffer_load_dword v81, off, s[24:27], 0 offset:264
	buffer_load_dword v82, off, s[24:27], 0 offset:268
	;; [unrolled: 1-line block ×4, first 2 shown]
	global_store_dwordx4 v[42:43], v[4:7], off
	global_store_dwordx4 v[50:51], v[20:23], off
	v_mul_f64 v[4:5], v[24:25], s[2:3]
	v_fma_f64 v[20:21], v[69:70], v[0:1], v[40:41]
	v_fma_f64 v[22:23], v[69:70], v[2:3], -v[48:49]
	v_fma_f64 v[24:25], v[77:78], v[28:29], v[57:58]
	v_mul_f64 v[0:1], v[16:17], s[2:3]
	v_mul_f64 v[2:3], v[18:19], s[2:3]
	v_fma_f64 v[16:17], v[71:72], v[8:9], v[44:45]
	v_fma_f64 v[18:19], v[71:72], v[10:11], -v[46:47]
	v_mul_f64 v[6:7], v[26:27], s[2:3]
	v_add_co_u32 v40, s0, v50, s4
	v_fma_f64 v[26:27], v[77:78], v[30:31], -v[59:60]
	v_add_co_ci_u32_e64 v41, s0, s5, v51, s0
	v_fma_f64 v[28:29], v[79:80], v[32:33], v[61:62]
	v_fma_f64 v[30:31], v[79:80], v[34:35], -v[63:64]
	v_mul_f64 v[8:9], v[20:21], s[2:3]
	v_mul_f64 v[10:11], v[22:23], s[2:3]
	;; [unrolled: 1-line block ×5, first 2 shown]
	global_store_dwordx4 v[40:41], v[4:7], off
	v_mul_f64 v[22:23], v[26:27], s[2:3]
	v_mul_f64 v[24:25], v[28:29], s[2:3]
	;; [unrolled: 1-line block ×3, first 2 shown]
	s_waitcnt vmcnt(0)
	v_mul_f64 v[65:66], v[83:84], v[38:39]
	v_mul_f64 v[67:68], v[83:84], v[36:37]
	v_fma_f64 v[32:33], v[81:82], v[36:37], v[65:66]
	v_fma_f64 v[34:35], v[81:82], v[38:39], -v[67:68]
	v_add_co_u32 v36, s0, v40, s4
	v_add_co_ci_u32_e64 v37, s0, s5, v41, s0
	v_add_co_u32 v38, s0, v36, s6
	v_add_co_ci_u32_e64 v39, s0, s7, v37, s0
	global_store_dwordx4 v[36:37], v[0:3], off
	v_add_co_u32 v42, s0, v38, s4
	v_add_co_ci_u32_e64 v43, s0, s5, v39, s0
	global_store_dwordx4 v[38:39], v[8:11], off
	v_mul_f64 v[28:29], v[32:33], s[2:3]
	v_add_co_u32 v32, s0, v42, s4
	v_add_co_ci_u32_e64 v33, s0, s5, v43, s0
	v_mul_f64 v[30:31], v[34:35], s[2:3]
	v_add_co_u32 v4, s0, v32, s6
	v_add_co_ci_u32_e64 v5, s0, s7, v33, s0
	v_add_co_u32 v2, s0, v4, s4
	v_add_co_ci_u32_e64 v3, s0, s5, v5, s0
	;; [unrolled: 2-line block ×3, first 2 shown]
	global_store_dwordx4 v[42:43], v[12:15], off
	global_store_dwordx4 v[32:33], v[16:19], off
	;; [unrolled: 1-line block ×5, first 2 shown]
	s_and_b32 exec_lo, exec_lo, vcc_lo
	s_cbranch_execz .LBB0_31
; %bb.30:
	s_clause 0x1
	buffer_load_dword v2, off, s[24:27], 0 offset:20
	buffer_load_dword v3, off, s[24:27], 0 offset:24
	s_waitcnt vmcnt(0)
	global_load_dwordx4 v[2:5], v[2:3], off offset:224
	ds_read_b128 v[6:9], v56 offset:4320
	ds_read_b128 v[10:13], v56 offset:8928
	s_waitcnt vmcnt(0) lgkmcnt(1)
	v_mul_f64 v[14:15], v[8:9], v[4:5]
	v_mul_f64 v[4:5], v[6:7], v[4:5]
	v_fma_f64 v[6:7], v[6:7], v[2:3], v[14:15]
	v_fma_f64 v[4:5], v[2:3], v[8:9], -v[4:5]
	v_mul_f64 v[2:3], v[6:7], s[2:3]
	v_mul_f64 v[4:5], v[4:5], s[2:3]
	v_add_co_u32 v6, vcc_lo, v0, s6
	v_add_co_ci_u32_e32 v7, vcc_lo, s7, v1, vcc_lo
	v_add_co_u32 v8, vcc_lo, v6, s4
	v_add_co_ci_u32_e32 v9, vcc_lo, s5, v7, vcc_lo
	global_store_dwordx4 v[6:7], v[2:5], off
	s_clause 0x1
	buffer_load_dword v0, off, s[24:27], 0 offset:12
	buffer_load_dword v1, off, s[24:27], 0 offset:16
	s_waitcnt vmcnt(0)
	global_load_dwordx4 v[0:3], v[0:1], off offset:736
	s_waitcnt vmcnt(0) lgkmcnt(0)
	v_mul_f64 v[4:5], v[12:13], v[2:3]
	v_mul_f64 v[2:3], v[10:11], v[2:3]
	v_fma_f64 v[4:5], v[10:11], v[0:1], v[4:5]
	v_fma_f64 v[2:3], v[0:1], v[12:13], -v[2:3]
	v_mul_f64 v[0:1], v[4:5], s[2:3]
	v_mul_f64 v[2:3], v[2:3], s[2:3]
	global_store_dwordx4 v[8:9], v[0:3], off
	s_clause 0x1
	buffer_load_dword v0, off, s[24:27], 0 offset:112
	buffer_load_dword v1, off, s[24:27], 0 offset:116
	ds_read_b128 v[4:7], v56 offset:13536
	s_waitcnt vmcnt(0)
	global_load_dwordx4 v[0:3], v[0:1], off offset:1248
	s_waitcnt vmcnt(0) lgkmcnt(0)
	v_mul_f64 v[10:11], v[6:7], v[2:3]
	v_mul_f64 v[2:3], v[4:5], v[2:3]
	v_fma_f64 v[4:5], v[4:5], v[0:1], v[10:11]
	v_fma_f64 v[2:3], v[0:1], v[6:7], -v[2:3]
	v_mul_f64 v[0:1], v[4:5], s[2:3]
	v_mul_f64 v[2:3], v[2:3], s[2:3]
	v_add_co_u32 v4, vcc_lo, v8, s4
	v_add_co_ci_u32_e32 v5, vcc_lo, s5, v9, vcc_lo
	global_store_dwordx4 v[4:5], v[0:3], off
.LBB0_31:
	s_endpgm
	.section	.rodata,"a",@progbits
	.p2align	6, 0x0
	.amdhsa_kernel bluestein_single_fwd_len864_dim1_dp_op_CI_CI
		.amdhsa_group_segment_fixed_size 13824
		.amdhsa_private_segment_fixed_size 376
		.amdhsa_kernarg_size 104
		.amdhsa_user_sgpr_count 6
		.amdhsa_user_sgpr_private_segment_buffer 1
		.amdhsa_user_sgpr_dispatch_ptr 0
		.amdhsa_user_sgpr_queue_ptr 0
		.amdhsa_user_sgpr_kernarg_segment_ptr 1
		.amdhsa_user_sgpr_dispatch_id 0
		.amdhsa_user_sgpr_flat_scratch_init 0
		.amdhsa_user_sgpr_private_segment_size 0
		.amdhsa_wavefront_size32 1
		.amdhsa_uses_dynamic_stack 0
		.amdhsa_system_sgpr_private_segment_wavefront_offset 1
		.amdhsa_system_sgpr_workgroup_id_x 1
		.amdhsa_system_sgpr_workgroup_id_y 0
		.amdhsa_system_sgpr_workgroup_id_z 0
		.amdhsa_system_sgpr_workgroup_info 0
		.amdhsa_system_vgpr_workitem_id 0
		.amdhsa_next_free_vgpr 256
		.amdhsa_next_free_sgpr 28
		.amdhsa_reserve_vcc 1
		.amdhsa_reserve_flat_scratch 0
		.amdhsa_float_round_mode_32 0
		.amdhsa_float_round_mode_16_64 0
		.amdhsa_float_denorm_mode_32 3
		.amdhsa_float_denorm_mode_16_64 3
		.amdhsa_dx10_clamp 1
		.amdhsa_ieee_mode 1
		.amdhsa_fp16_overflow 0
		.amdhsa_workgroup_processor_mode 1
		.amdhsa_memory_ordered 1
		.amdhsa_forward_progress 0
		.amdhsa_shared_vgpr_count 0
		.amdhsa_exception_fp_ieee_invalid_op 0
		.amdhsa_exception_fp_denorm_src 0
		.amdhsa_exception_fp_ieee_div_zero 0
		.amdhsa_exception_fp_ieee_overflow 0
		.amdhsa_exception_fp_ieee_underflow 0
		.amdhsa_exception_fp_ieee_inexact 0
		.amdhsa_exception_int_div_zero 0
	.end_amdhsa_kernel
	.text
.Lfunc_end0:
	.size	bluestein_single_fwd_len864_dim1_dp_op_CI_CI, .Lfunc_end0-bluestein_single_fwd_len864_dim1_dp_op_CI_CI
                                        ; -- End function
	.section	.AMDGPU.csdata,"",@progbits
; Kernel info:
; codeLenInByte = 21100
; NumSgprs: 30
; NumVgprs: 256
; ScratchSize: 376
; MemoryBound: 0
; FloatMode: 240
; IeeeMode: 1
; LDSByteSize: 13824 bytes/workgroup (compile time only)
; SGPRBlocks: 3
; VGPRBlocks: 31
; NumSGPRsForWavesPerEU: 30
; NumVGPRsForWavesPerEU: 256
; Occupancy: 4
; WaveLimiterHint : 1
; COMPUTE_PGM_RSRC2:SCRATCH_EN: 1
; COMPUTE_PGM_RSRC2:USER_SGPR: 6
; COMPUTE_PGM_RSRC2:TRAP_HANDLER: 0
; COMPUTE_PGM_RSRC2:TGID_X_EN: 1
; COMPUTE_PGM_RSRC2:TGID_Y_EN: 0
; COMPUTE_PGM_RSRC2:TGID_Z_EN: 0
; COMPUTE_PGM_RSRC2:TIDIG_COMP_CNT: 0
	.text
	.p2alignl 6, 3214868480
	.fill 48, 4, 3214868480
	.type	__hip_cuid_14a058ec8d37b592,@object ; @__hip_cuid_14a058ec8d37b592
	.section	.bss,"aw",@nobits
	.globl	__hip_cuid_14a058ec8d37b592
__hip_cuid_14a058ec8d37b592:
	.byte	0                               ; 0x0
	.size	__hip_cuid_14a058ec8d37b592, 1

	.ident	"AMD clang version 19.0.0git (https://github.com/RadeonOpenCompute/llvm-project roc-6.4.0 25133 c7fe45cf4b819c5991fe208aaa96edf142730f1d)"
	.section	".note.GNU-stack","",@progbits
	.addrsig
	.addrsig_sym __hip_cuid_14a058ec8d37b592
	.amdgpu_metadata
---
amdhsa.kernels:
  - .args:
      - .actual_access:  read_only
        .address_space:  global
        .offset:         0
        .size:           8
        .value_kind:     global_buffer
      - .actual_access:  read_only
        .address_space:  global
        .offset:         8
        .size:           8
        .value_kind:     global_buffer
      - .actual_access:  read_only
        .address_space:  global
        .offset:         16
        .size:           8
        .value_kind:     global_buffer
      - .actual_access:  read_only
        .address_space:  global
        .offset:         24
        .size:           8
        .value_kind:     global_buffer
      - .actual_access:  read_only
        .address_space:  global
        .offset:         32
        .size:           8
        .value_kind:     global_buffer
      - .offset:         40
        .size:           8
        .value_kind:     by_value
      - .address_space:  global
        .offset:         48
        .size:           8
        .value_kind:     global_buffer
      - .address_space:  global
        .offset:         56
        .size:           8
        .value_kind:     global_buffer
      - .address_space:  global
        .offset:         64
        .size:           8
        .value_kind:     global_buffer
      - .address_space:  global
        .offset:         72
        .size:           8
        .value_kind:     global_buffer
      - .offset:         80
        .size:           4
        .value_kind:     by_value
      - .address_space:  global
        .offset:         88
        .size:           8
        .value_kind:     global_buffer
      - .address_space:  global
        .offset:         96
        .size:           8
        .value_kind:     global_buffer
    .group_segment_fixed_size: 13824
    .kernarg_segment_align: 8
    .kernarg_segment_size: 104
    .language:       OpenCL C
    .language_version:
      - 2
      - 0
    .max_flat_workgroup_size: 54
    .name:           bluestein_single_fwd_len864_dim1_dp_op_CI_CI
    .private_segment_fixed_size: 376
    .sgpr_count:     30
    .sgpr_spill_count: 0
    .symbol:         bluestein_single_fwd_len864_dim1_dp_op_CI_CI.kd
    .uniform_work_group_size: 1
    .uses_dynamic_stack: false
    .vgpr_count:     256
    .vgpr_spill_count: 94
    .wavefront_size: 32
    .workgroup_processor_mode: 1
amdhsa.target:   amdgcn-amd-amdhsa--gfx1030
amdhsa.version:
  - 1
  - 2
...

	.end_amdgpu_metadata
